;; amdgpu-corpus repo=ROCm/rocFFT kind=compiled arch=gfx906 opt=O3
	.text
	.amdgcn_target "amdgcn-amd-amdhsa--gfx906"
	.amdhsa_code_object_version 6
	.protected	fft_rtc_back_len1200_factors_5_5_16_3_wgs_225_tpt_75_halfLds_sp_op_CI_CI_unitstride_sbrr_C2R_dirReg ; -- Begin function fft_rtc_back_len1200_factors_5_5_16_3_wgs_225_tpt_75_halfLds_sp_op_CI_CI_unitstride_sbrr_C2R_dirReg
	.globl	fft_rtc_back_len1200_factors_5_5_16_3_wgs_225_tpt_75_halfLds_sp_op_CI_CI_unitstride_sbrr_C2R_dirReg
	.p2align	8
	.type	fft_rtc_back_len1200_factors_5_5_16_3_wgs_225_tpt_75_halfLds_sp_op_CI_CI_unitstride_sbrr_C2R_dirReg,@function
fft_rtc_back_len1200_factors_5_5_16_3_wgs_225_tpt_75_halfLds_sp_op_CI_CI_unitstride_sbrr_C2R_dirReg: ; @fft_rtc_back_len1200_factors_5_5_16_3_wgs_225_tpt_75_halfLds_sp_op_CI_CI_unitstride_sbrr_C2R_dirReg
; %bb.0:
	s_load_dwordx4 s[8:11], s[4:5], 0x58
	s_load_dwordx4 s[12:15], s[4:5], 0x0
	;; [unrolled: 1-line block ×3, first 2 shown]
	v_mul_u32_u24_e32 v1, 0x36a, v0
	v_lshrrev_b32_e32 v1, 16, v1
	v_mad_u64_u32 v[3:4], s[0:1], s6, 3, v[1:2]
	v_mov_b32_e32 v5, 0
	v_mov_b32_e32 v1, 0
	;; [unrolled: 1-line block ×3, first 2 shown]
	s_waitcnt lgkmcnt(0)
	v_cmp_lt_u64_e64 s[0:1], s[14:15], 2
	v_mov_b32_e32 v2, 0
	v_mov_b32_e32 v38, v2
	;; [unrolled: 1-line block ×3, first 2 shown]
	s_and_b64 vcc, exec, s[0:1]
	v_mov_b32_e32 v37, v1
	v_mov_b32_e32 v41, v3
	s_cbranch_vccnz .LBB0_8
; %bb.1:
	s_load_dwordx2 s[0:1], s[4:5], 0x10
	s_add_u32 s2, s18, 8
	s_addc_u32 s3, s19, 0
	s_add_u32 s6, s16, 8
	v_mov_b32_e32 v1, 0
	s_addc_u32 s7, s17, 0
	v_mov_b32_e32 v2, 0
	s_waitcnt lgkmcnt(0)
	s_add_u32 s20, s0, 8
	v_mov_b32_e32 v38, v2
	v_mov_b32_e32 v8, v4
	s_addc_u32 s21, s1, 0
	s_mov_b64 s[22:23], 1
	v_mov_b32_e32 v37, v1
	v_mov_b32_e32 v7, v3
.LBB0_2:                                ; =>This Inner Loop Header: Depth=1
	s_load_dwordx2 s[24:25], s[20:21], 0x0
                                        ; implicit-def: $vgpr41_vgpr42
	s_waitcnt lgkmcnt(0)
	v_or_b32_e32 v6, s25, v8
	v_cmp_ne_u64_e32 vcc, 0, v[5:6]
	s_and_saveexec_b64 s[0:1], vcc
	s_xor_b64 s[26:27], exec, s[0:1]
	s_cbranch_execz .LBB0_4
; %bb.3:                                ;   in Loop: Header=BB0_2 Depth=1
	v_cvt_f32_u32_e32 v4, s24
	v_cvt_f32_u32_e32 v6, s25
	s_sub_u32 s0, 0, s24
	s_subb_u32 s1, 0, s25
	v_mac_f32_e32 v4, 0x4f800000, v6
	v_rcp_f32_e32 v4, v4
	v_mul_f32_e32 v4, 0x5f7ffffc, v4
	v_mul_f32_e32 v6, 0x2f800000, v4
	v_trunc_f32_e32 v6, v6
	v_mac_f32_e32 v4, 0xcf800000, v6
	v_cvt_u32_f32_e32 v6, v6
	v_cvt_u32_f32_e32 v4, v4
	v_mul_lo_u32 v9, s0, v6
	v_mul_hi_u32 v10, s0, v4
	v_mul_lo_u32 v12, s1, v4
	v_mul_lo_u32 v11, s0, v4
	v_add_u32_e32 v9, v10, v9
	v_add_u32_e32 v9, v9, v12
	v_mul_hi_u32 v10, v4, v11
	v_mul_lo_u32 v12, v4, v9
	v_mul_hi_u32 v14, v4, v9
	v_mul_hi_u32 v13, v6, v11
	v_mul_lo_u32 v11, v6, v11
	v_mul_hi_u32 v15, v6, v9
	v_add_co_u32_e32 v10, vcc, v10, v12
	v_addc_co_u32_e32 v12, vcc, 0, v14, vcc
	v_mul_lo_u32 v9, v6, v9
	v_add_co_u32_e32 v10, vcc, v10, v11
	v_addc_co_u32_e32 v10, vcc, v12, v13, vcc
	v_addc_co_u32_e32 v11, vcc, 0, v15, vcc
	v_add_co_u32_e32 v9, vcc, v10, v9
	v_addc_co_u32_e32 v10, vcc, 0, v11, vcc
	v_add_co_u32_e32 v4, vcc, v4, v9
	v_addc_co_u32_e32 v6, vcc, v6, v10, vcc
	v_mul_lo_u32 v9, s0, v6
	v_mul_hi_u32 v10, s0, v4
	v_mul_lo_u32 v11, s1, v4
	v_mul_lo_u32 v12, s0, v4
	v_add_u32_e32 v9, v10, v9
	v_add_u32_e32 v9, v9, v11
	v_mul_lo_u32 v13, v4, v9
	v_mul_hi_u32 v14, v4, v12
	v_mul_hi_u32 v15, v4, v9
	;; [unrolled: 1-line block ×3, first 2 shown]
	v_mul_lo_u32 v12, v6, v12
	v_mul_hi_u32 v10, v6, v9
	v_add_co_u32_e32 v13, vcc, v14, v13
	v_addc_co_u32_e32 v14, vcc, 0, v15, vcc
	v_mul_lo_u32 v9, v6, v9
	v_add_co_u32_e32 v12, vcc, v13, v12
	v_addc_co_u32_e32 v11, vcc, v14, v11, vcc
	v_addc_co_u32_e32 v10, vcc, 0, v10, vcc
	v_add_co_u32_e32 v9, vcc, v11, v9
	v_addc_co_u32_e32 v10, vcc, 0, v10, vcc
	v_add_co_u32_e32 v4, vcc, v4, v9
	v_addc_co_u32_e32 v6, vcc, v6, v10, vcc
	v_mad_u64_u32 v[9:10], s[0:1], v7, v6, 0
	v_mul_hi_u32 v11, v7, v4
	v_add_co_u32_e32 v13, vcc, v11, v9
	v_addc_co_u32_e32 v14, vcc, 0, v10, vcc
	v_mad_u64_u32 v[9:10], s[0:1], v8, v4, 0
	v_mad_u64_u32 v[11:12], s[0:1], v8, v6, 0
	v_add_co_u32_e32 v4, vcc, v13, v9
	v_addc_co_u32_e32 v4, vcc, v14, v10, vcc
	v_addc_co_u32_e32 v6, vcc, 0, v12, vcc
	v_add_co_u32_e32 v4, vcc, v4, v11
	v_addc_co_u32_e32 v6, vcc, 0, v6, vcc
	v_mul_lo_u32 v11, s25, v4
	v_mul_lo_u32 v12, s24, v6
	v_mad_u64_u32 v[9:10], s[0:1], s24, v4, 0
	v_add3_u32 v10, v10, v12, v11
	v_sub_u32_e32 v11, v8, v10
	v_mov_b32_e32 v12, s25
	v_sub_co_u32_e32 v9, vcc, v7, v9
	v_subb_co_u32_e64 v11, s[0:1], v11, v12, vcc
	v_subrev_co_u32_e64 v12, s[0:1], s24, v9
	v_subbrev_co_u32_e64 v11, s[0:1], 0, v11, s[0:1]
	v_cmp_le_u32_e64 s[0:1], s25, v11
	v_cndmask_b32_e64 v13, 0, -1, s[0:1]
	v_cmp_le_u32_e64 s[0:1], s24, v12
	v_cndmask_b32_e64 v12, 0, -1, s[0:1]
	v_cmp_eq_u32_e64 s[0:1], s25, v11
	v_cndmask_b32_e64 v11, v13, v12, s[0:1]
	v_add_co_u32_e64 v12, s[0:1], 2, v4
	v_addc_co_u32_e64 v13, s[0:1], 0, v6, s[0:1]
	v_add_co_u32_e64 v14, s[0:1], 1, v4
	v_addc_co_u32_e64 v15, s[0:1], 0, v6, s[0:1]
	v_subb_co_u32_e32 v10, vcc, v8, v10, vcc
	v_cmp_ne_u32_e64 s[0:1], 0, v11
	v_cmp_le_u32_e32 vcc, s25, v10
	v_cndmask_b32_e64 v11, v15, v13, s[0:1]
	v_cndmask_b32_e64 v13, 0, -1, vcc
	v_cmp_le_u32_e32 vcc, s24, v9
	v_cndmask_b32_e64 v9, 0, -1, vcc
	v_cmp_eq_u32_e32 vcc, s25, v10
	v_cndmask_b32_e32 v9, v13, v9, vcc
	v_cmp_ne_u32_e32 vcc, 0, v9
	v_cndmask_b32_e32 v42, v6, v11, vcc
	v_cndmask_b32_e64 v6, v14, v12, s[0:1]
	v_cndmask_b32_e32 v41, v4, v6, vcc
.LBB0_4:                                ;   in Loop: Header=BB0_2 Depth=1
	s_andn2_saveexec_b64 s[0:1], s[26:27]
	s_cbranch_execz .LBB0_6
; %bb.5:                                ;   in Loop: Header=BB0_2 Depth=1
	v_cvt_f32_u32_e32 v4, s24
	s_sub_i32 s26, 0, s24
	v_mov_b32_e32 v42, v5
	v_rcp_iflag_f32_e32 v4, v4
	v_mul_f32_e32 v4, 0x4f7ffffe, v4
	v_cvt_u32_f32_e32 v4, v4
	v_mul_lo_u32 v6, s26, v4
	v_mul_hi_u32 v6, v4, v6
	v_add_u32_e32 v4, v4, v6
	v_mul_hi_u32 v4, v7, v4
	v_mul_lo_u32 v6, v4, s24
	v_add_u32_e32 v9, 1, v4
	v_sub_u32_e32 v6, v7, v6
	v_subrev_u32_e32 v10, s24, v6
	v_cmp_le_u32_e32 vcc, s24, v6
	v_cndmask_b32_e32 v6, v6, v10, vcc
	v_cndmask_b32_e32 v4, v4, v9, vcc
	v_add_u32_e32 v9, 1, v4
	v_cmp_le_u32_e32 vcc, s24, v6
	v_cndmask_b32_e32 v41, v4, v9, vcc
.LBB0_6:                                ;   in Loop: Header=BB0_2 Depth=1
	s_or_b64 exec, exec, s[0:1]
	v_mul_lo_u32 v4, v42, s24
	v_mul_lo_u32 v6, v41, s25
	v_mad_u64_u32 v[9:10], s[0:1], v41, s24, 0
	s_load_dwordx2 s[0:1], s[6:7], 0x0
	s_load_dwordx2 s[24:25], s[2:3], 0x0
	v_add3_u32 v4, v10, v6, v4
	v_sub_co_u32_e32 v6, vcc, v7, v9
	v_subb_co_u32_e32 v4, vcc, v8, v4, vcc
	s_waitcnt lgkmcnt(0)
	v_mul_lo_u32 v7, s0, v4
	v_mul_lo_u32 v8, s1, v6
	v_mad_u64_u32 v[1:2], s[0:1], s0, v6, v[1:2]
	s_add_u32 s22, s22, 1
	s_addc_u32 s23, s23, 0
	s_add_u32 s2, s2, 8
	v_mul_lo_u32 v4, s24, v4
	v_mul_lo_u32 v9, s25, v6
	v_mad_u64_u32 v[37:38], s[0:1], s24, v6, v[37:38]
	v_add3_u32 v2, v8, v2, v7
	s_addc_u32 s3, s3, 0
	v_mov_b32_e32 v6, s14
	s_add_u32 s6, s6, 8
	v_mov_b32_e32 v7, s15
	s_addc_u32 s7, s7, 0
	v_cmp_ge_u64_e32 vcc, s[22:23], v[6:7]
	s_add_u32 s20, s20, 8
	v_add3_u32 v38, v9, v38, v4
	s_addc_u32 s21, s21, 0
	s_cbranch_vccnz .LBB0_8
; %bb.7:                                ;   in Loop: Header=BB0_2 Depth=1
	v_mov_b32_e32 v7, v41
	v_mov_b32_e32 v8, v42
	s_branch .LBB0_2
.LBB0_8:
	s_mov_b32 s0, 0xaaaaaaab
	s_load_dwordx2 s[2:3], s[4:5], 0x28
	v_mul_hi_u32 v4, v3, s0
	s_lshl_b64 s[6:7], s[14:15], 3
	s_add_u32 s4, s18, s6
	s_addc_u32 s5, s19, s7
	v_lshrrev_b32_e32 v4, 1, v4
	v_lshl_add_u32 v4, v4, 1, v4
	s_waitcnt lgkmcnt(0)
	v_cmp_gt_u64_e64 s[0:1], s[2:3], v[41:42]
	v_cmp_le_u64_e32 vcc, s[2:3], v[41:42]
	v_sub_u32_e32 v3, v3, v4
                                        ; implicit-def: $vgpr39
	s_and_saveexec_b64 s[2:3], vcc
	s_xor_b64 s[2:3], exec, s[2:3]
; %bb.9:
	s_mov_b32 s14, 0x369d037
	v_mul_hi_u32 v1, v0, s14
	v_mul_u32_u24_e32 v1, 0x4b, v1
	v_sub_u32_e32 v39, v0, v1
                                        ; implicit-def: $vgpr0
                                        ; implicit-def: $vgpr1_vgpr2
; %bb.10:
	s_or_saveexec_b64 s[2:3], s[2:3]
	s_load_dwordx2 s[4:5], s[4:5], 0x0
	v_mul_u32_u24_e32 v48, 0x4b1, v3
	v_lshlrev_b32_e32 v49, 3, v48
	s_xor_b64 exec, exec, s[2:3]
	s_cbranch_execz .LBB0_14
; %bb.11:
	s_add_u32 s6, s16, s6
	s_addc_u32 s7, s17, s7
	s_load_dwordx2 s[6:7], s[6:7], 0x0
	s_mov_b32 s14, 0x369d037
	v_mul_hi_u32 v5, v0, s14
	v_lshlrev_b64 v[1:2], 3, v[1:2]
	s_waitcnt lgkmcnt(0)
	v_mul_lo_u32 v6, s7, v41
	v_mul_lo_u32 v7, s6, v42
	v_mad_u64_u32 v[3:4], s[6:7], s6, v41, 0
	v_mul_u32_u24_e32 v5, 0x4b, v5
	v_sub_u32_e32 v39, v0, v5
	v_add3_u32 v4, v4, v7, v6
	v_lshlrev_b64 v[3:4], 3, v[3:4]
	v_mov_b32_e32 v0, s9
	v_add_co_u32_e32 v3, vcc, s8, v3
	v_addc_co_u32_e32 v0, vcc, v0, v4, vcc
	v_add_co_u32_e32 v1, vcc, v3, v1
	v_addc_co_u32_e32 v0, vcc, v0, v2, vcc
	v_lshlrev_b32_e32 v36, 3, v39
	v_add_co_u32_e32 v2, vcc, v1, v36
	v_addc_co_u32_e32 v3, vcc, 0, v0, vcc
	s_movk_i32 s6, 0x1000
	v_add_co_u32_e32 v4, vcc, s6, v2
	v_addc_co_u32_e32 v5, vcc, 0, v3, vcc
	v_add_co_u32_e32 v22, vcc, 0x2000, v2
	global_load_dwordx2 v[6:7], v[2:3], off offset:2400
	global_load_dwordx2 v[8:9], v[2:3], off offset:3000
	;; [unrolled: 1-line block ×8, first 2 shown]
	global_load_dwordx2 v[24:25], v[2:3], off
	global_load_dwordx2 v[26:27], v[2:3], off offset:600
	global_load_dwordx2 v[28:29], v[2:3], off offset:1200
	;; [unrolled: 1-line block ×3, first 2 shown]
	v_addc_co_u32_e32 v23, vcc, 0, v3, vcc
	global_load_dwordx2 v[32:33], v[4:5], off offset:3104
	global_load_dwordx2 v[34:35], v[4:5], off offset:3704
	;; [unrolled: 1-line block ×4, first 2 shown]
	s_movk_i32 s6, 0x4a
	v_add3_u32 v2, 0, v49, v36
	v_add_u32_e32 v3, 0x800, v2
	v_cmp_eq_u32_e32 vcc, s6, v39
	v_add_u32_e32 v4, 0xc00, v2
	v_add_u32_e32 v5, 0x1000, v2
	;; [unrolled: 1-line block ×5, first 2 shown]
	s_waitcnt vmcnt(14)
	ds_write2_b64 v3, v[6:7], v[8:9] offset0:44 offset1:119
	s_waitcnt vmcnt(6)
	ds_write2_b64 v2, v[24:25], v[26:27] offset1:75
	s_waitcnt vmcnt(4)
	ds_write2_b64 v2, v[28:29], v[30:31] offset0:150 offset1:225
	ds_write2_b64 v4, v[10:11], v[12:13] offset0:66 offset1:141
	;; [unrolled: 1-line block ×4, first 2 shown]
	s_waitcnt vmcnt(2)
	ds_write2_b64 v23, v[32:33], v[34:35] offset0:132 offset1:207
	s_waitcnt vmcnt(0)
	ds_write2_b64 v36, v[43:44], v[45:46] offset0:26 offset1:101
	s_and_saveexec_b64 s[6:7], vcc
	s_cbranch_execz .LBB0_13
; %bb.12:
	v_add_co_u32_e32 v3, vcc, 0x2000, v1
	v_addc_co_u32_e32 v4, vcc, 0, v0, vcc
	global_load_dwordx2 v[0:1], v[3:4], off offset:1408
	v_mov_b32_e32 v39, 0x4a
	s_waitcnt vmcnt(0)
	ds_write_b64 v2, v[0:1] offset:9008
.LBB0_13:
	s_or_b64 exec, exec, s[6:7]
.LBB0_14:
	s_or_b64 exec, exec, s[2:3]
	v_lshl_add_u32 v47, v48, 3, 0
	v_lshlrev_b32_e32 v0, 3, v39
	v_add_u32_e32 v50, v47, v0
	s_waitcnt lgkmcnt(0)
	s_barrier
	v_sub_u32_e32 v4, v47, v0
	ds_read_b32 v5, v50
	ds_read_b32 v6, v4 offset:9600
	s_add_u32 s6, s12, 0x2558
	s_addc_u32 s7, s13, 0
	v_cmp_ne_u32_e32 vcc, 0, v39
                                        ; implicit-def: $vgpr2_vgpr3
	s_waitcnt lgkmcnt(0)
	v_add_f32_e32 v0, v6, v5
	v_sub_f32_e32 v1, v5, v6
	s_and_saveexec_b64 s[2:3], vcc
	s_xor_b64 s[2:3], exec, s[2:3]
	s_cbranch_execz .LBB0_16
; %bb.15:
	v_mov_b32_e32 v40, 0
	v_lshlrev_b64 v[0:1], 3, v[39:40]
	v_mov_b32_e32 v2, s7
	v_add_co_u32_e32 v0, vcc, s6, v0
	v_addc_co_u32_e32 v1, vcc, v2, v1, vcc
	global_load_dwordx2 v[2:3], v[0:1], off
	ds_read_b32 v0, v4 offset:9604
	ds_read_b32 v1, v50 offset:4
	v_add_f32_e32 v7, v6, v5
	v_sub_f32_e32 v8, v5, v6
	s_waitcnt lgkmcnt(0)
	v_add_f32_e32 v9, v0, v1
	v_sub_f32_e32 v0, v1, v0
	s_waitcnt vmcnt(0)
	v_fma_f32 v10, v8, v3, v7
	v_fma_f32 v1, v9, v3, v0
	v_fma_f32 v5, -v8, v3, v7
	v_fma_f32 v6, v9, v3, -v0
	v_fma_f32 v0, -v2, v9, v10
	v_fmac_f32_e32 v1, v8, v2
	v_fmac_f32_e32 v5, v2, v9
	;; [unrolled: 1-line block ×3, first 2 shown]
	v_mov_b32_e32 v2, v39
	ds_write_b64 v4, v[5:6] offset:9600
	v_mov_b32_e32 v3, v40
.LBB0_16:
	s_andn2_saveexec_b64 s[2:3], s[2:3]
	s_cbranch_execz .LBB0_18
; %bb.17:
	ds_read_b64 v[2:3], v47 offset:4800
	s_waitcnt lgkmcnt(0)
	v_add_f32_e32 v5, v2, v2
	v_mul_f32_e32 v6, -2.0, v3
	v_mov_b32_e32 v2, 0
	v_mov_b32_e32 v3, 0
	ds_write_b64 v47, v[5:6] offset:4800
.LBB0_18:
	s_or_b64 exec, exec, s[2:3]
	v_lshlrev_b64 v[2:3], 3, v[2:3]
	v_mov_b32_e32 v5, s7
	v_add_co_u32_e32 v2, vcc, s6, v2
	v_addc_co_u32_e32 v3, vcc, v5, v3, vcc
	global_load_dwordx2 v[5:6], v[2:3], off offset:600
	global_load_dwordx2 v[7:8], v[2:3], off offset:1200
	;; [unrolled: 1-line block ×4, first 2 shown]
	ds_write_b64 v50, v[0:1]
	ds_read_b64 v[0:1], v50 offset:600
	ds_read_b64 v[13:14], v4 offset:9000
	global_load_dwordx2 v[15:16], v[2:3], off offset:3000
	s_movk_i32 s2, 0x1000
	v_lshl_add_u32 v51, v39, 3, 0
	v_add_u32_e32 v40, v51, v49
	s_waitcnt lgkmcnt(0)
	v_add_f32_e32 v17, v0, v13
	v_add_f32_e32 v18, v14, v1
	v_sub_f32_e32 v19, v0, v13
	v_sub_f32_e32 v0, v1, v14
	v_add_u32_e32 v36, 0x800, v40
	v_add_u32_e32 v34, 0x1000, v40
	;; [unrolled: 1-line block ×4, first 2 shown]
	s_waitcnt vmcnt(4)
	v_fma_f32 v20, v19, v6, v17
	v_fma_f32 v1, v18, v6, v0
	v_fma_f32 v13, -v19, v6, v17
	v_fma_f32 v14, v18, v6, -v0
	v_fma_f32 v0, -v5, v18, v20
	v_fmac_f32_e32 v1, v19, v5
	v_fmac_f32_e32 v13, v5, v18
	;; [unrolled: 1-line block ×3, first 2 shown]
	ds_write_b64 v50, v[0:1] offset:600
	ds_write_b64 v4, v[13:14] offset:9000
	ds_read_b64 v[0:1], v50 offset:1200
	ds_read_b64 v[5:6], v4 offset:8400
	global_load_dwordx2 v[13:14], v[2:3], off offset:3600
	v_add_co_u32_e32 v2, vcc, s2, v2
	v_addc_co_u32_e32 v3, vcc, 0, v3, vcc
	s_waitcnt lgkmcnt(0)
	v_add_f32_e32 v17, v0, v5
	v_add_f32_e32 v18, v6, v1
	v_sub_f32_e32 v19, v0, v5
	v_sub_f32_e32 v0, v1, v6
	s_waitcnt vmcnt(4)
	v_fma_f32 v20, v19, v8, v17
	v_fma_f32 v1, v18, v8, v0
	v_fma_f32 v5, -v19, v8, v17
	v_fma_f32 v6, v18, v8, -v0
	v_fma_f32 v0, -v7, v18, v20
	v_fmac_f32_e32 v1, v19, v7
	v_fmac_f32_e32 v5, v7, v18
	v_fmac_f32_e32 v6, v19, v7
	ds_write_b64 v50, v[0:1] offset:1200
	ds_write_b64 v4, v[5:6] offset:8400
	ds_read_b64 v[0:1], v50 offset:1800
	ds_read_b64 v[5:6], v4 offset:7800
	global_load_dwordx2 v[2:3], v[2:3], off offset:104
	v_cmp_gt_u32_e32 vcc, 15, v39
	s_waitcnt lgkmcnt(0)
	v_add_f32_e32 v7, v0, v5
	v_add_f32_e32 v8, v6, v1
	v_sub_f32_e32 v17, v0, v5
	v_sub_f32_e32 v0, v1, v6
	s_waitcnt vmcnt(4)
	v_fma_f32 v18, v17, v10, v7
	v_fma_f32 v1, v8, v10, v0
	v_fma_f32 v5, -v17, v10, v7
	v_fma_f32 v6, v8, v10, -v0
	v_fma_f32 v0, -v9, v8, v18
	v_fmac_f32_e32 v1, v17, v9
	v_fmac_f32_e32 v5, v9, v8
	v_fmac_f32_e32 v6, v17, v9
	ds_write_b64 v50, v[0:1] offset:1800
	ds_write_b64 v4, v[5:6] offset:7800
	ds_read_b64 v[0:1], v50 offset:2400
	ds_read_b64 v[5:6], v4 offset:7200
	s_waitcnt lgkmcnt(0)
	v_add_f32_e32 v7, v0, v5
	v_add_f32_e32 v8, v6, v1
	v_sub_f32_e32 v9, v0, v5
	v_sub_f32_e32 v0, v1, v6
	s_waitcnt vmcnt(3)
	v_fma_f32 v10, v9, v12, v7
	v_fma_f32 v1, v8, v12, v0
	v_fma_f32 v5, -v9, v12, v7
	v_fma_f32 v6, v8, v12, -v0
	v_fma_f32 v0, -v11, v8, v10
	v_fmac_f32_e32 v1, v9, v11
	v_fmac_f32_e32 v5, v11, v8
	v_fmac_f32_e32 v6, v9, v11
	ds_write_b64 v50, v[0:1] offset:2400
	ds_write_b64 v4, v[5:6] offset:7200
	ds_read_b64 v[0:1], v50 offset:3000
	ds_read_b64 v[5:6], v4 offset:6600
	;; [unrolled: 18-line block ×4, first 2 shown]
	s_waitcnt lgkmcnt(0)
	v_add_f32_e32 v7, v0, v5
	v_add_f32_e32 v8, v6, v1
	v_sub_f32_e32 v9, v0, v5
	v_sub_f32_e32 v0, v1, v6
	s_waitcnt vmcnt(0)
	v_fma_f32 v10, v9, v3, v7
	v_fma_f32 v1, v8, v3, v0
	v_fma_f32 v5, -v9, v3, v7
	v_fma_f32 v6, v8, v3, -v0
	v_fma_f32 v0, -v2, v8, v10
	v_fmac_f32_e32 v1, v9, v2
	v_fmac_f32_e32 v5, v2, v8
	;; [unrolled: 1-line block ×3, first 2 shown]
	ds_write_b64 v50, v[0:1] offset:4200
	ds_write_b64 v4, v[5:6] offset:5400
	s_waitcnt lgkmcnt(0)
	s_barrier
	s_barrier
	ds_read2_b64 v[3:6], v40 offset0:225 offset1:240
	ds_read2_b64 v[14:17], v36 offset0:209 offset1:224
	;; [unrolled: 1-line block ×7, first 2 shown]
	ds_read_b64 v[7:8], v50
	ds_read2_b64 v[57:60], v35 offset0:27 offset1:102
	ds_read2_b64 v[61:64], v52 offset0:11 offset1:86
	ds_read_b64 v[65:66], v40 offset:9480
	s_waitcnt lgkmcnt(0)
	v_sub_f32_e32 v2, v5, v16
	v_add_f32_e32 v0, v7, v5
	v_add_f32_e32 v0, v0, v16
	;; [unrolled: 1-line block ×5, first 2 shown]
	v_fma_f32 v26, -0.5, v0, v7
	v_sub_f32_e32 v0, v6, v25
	v_mov_b32_e32 v30, v26
	v_fmac_f32_e32 v30, 0xbf737871, v0
	v_sub_f32_e32 v1, v17, v21
	v_sub_f32_e32 v9, v24, v20
	v_fmac_f32_e32 v26, 0x3f737871, v0
	v_fmac_f32_e32 v30, 0xbf167918, v1
	v_add_f32_e32 v2, v2, v9
	v_fmac_f32_e32 v26, 0x3f167918, v1
	v_fmac_f32_e32 v30, 0x3e9e377a, v2
	;; [unrolled: 1-line block ×3, first 2 shown]
	v_add_f32_e32 v2, v5, v24
	v_fma_f32 v7, -0.5, v2, v7
	v_mov_b32_e32 v32, v7
	v_fmac_f32_e32 v32, 0x3f737871, v1
	v_fmac_f32_e32 v7, 0xbf737871, v1
	;; [unrolled: 1-line block ×4, first 2 shown]
	v_add_f32_e32 v0, v8, v6
	v_add_f32_e32 v0, v0, v17
	;; [unrolled: 1-line block ×5, first 2 shown]
	v_sub_f32_e32 v2, v16, v5
	v_sub_f32_e32 v9, v20, v24
	v_fma_f32 v27, -0.5, v0, v8
	v_add_f32_e32 v2, v2, v9
	v_sub_f32_e32 v0, v5, v24
	v_mov_b32_e32 v31, v27
	v_fmac_f32_e32 v32, 0x3e9e377a, v2
	v_fmac_f32_e32 v7, 0x3e9e377a, v2
	;; [unrolled: 1-line block ×3, first 2 shown]
	v_sub_f32_e32 v1, v16, v20
	v_sub_f32_e32 v2, v6, v17
	;; [unrolled: 1-line block ×3, first 2 shown]
	v_fmac_f32_e32 v27, 0xbf737871, v0
	v_fmac_f32_e32 v31, 0x3f167918, v1
	v_add_f32_e32 v2, v2, v5
	v_fmac_f32_e32 v27, 0xbf167918, v1
	v_fmac_f32_e32 v31, 0x3e9e377a, v2
	;; [unrolled: 1-line block ×3, first 2 shown]
	v_add_f32_e32 v2, v6, v25
	v_fmac_f32_e32 v8, -0.5, v2
	v_mov_b32_e32 v33, v8
	v_fmac_f32_e32 v33, 0xbf737871, v1
	v_fmac_f32_e32 v8, 0x3f737871, v1
	v_fmac_f32_e32 v33, 0x3f167918, v0
	v_fmac_f32_e32 v8, 0xbf167918, v0
	v_add_f32_e32 v0, v10, v43
	v_add_f32_e32 v0, v0, v53
	;; [unrolled: 1-line block ×3, first 2 shown]
	v_sub_f32_e32 v2, v17, v6
	v_sub_f32_e32 v5, v21, v25
	v_add_f32_e32 v16, v0, v61
	v_add_f32_e32 v0, v53, v57
	;; [unrolled: 1-line block ×3, first 2 shown]
	v_fma_f32 v5, -0.5, v0, v10
	v_sub_f32_e32 v0, v44, v62
	v_mov_b32_e32 v20, v5
	v_fmac_f32_e32 v33, 0x3e9e377a, v2
	v_fmac_f32_e32 v8, 0x3e9e377a, v2
	;; [unrolled: 1-line block ×3, first 2 shown]
	v_sub_f32_e32 v1, v54, v58
	v_sub_f32_e32 v2, v43, v53
	;; [unrolled: 1-line block ×3, first 2 shown]
	v_fmac_f32_e32 v5, 0x3f737871, v0
	v_fmac_f32_e32 v20, 0xbf167918, v1
	v_add_f32_e32 v2, v2, v6
	v_fmac_f32_e32 v5, 0x3f167918, v1
	v_fmac_f32_e32 v20, 0x3e9e377a, v2
	;; [unrolled: 1-line block ×3, first 2 shown]
	v_add_f32_e32 v2, v43, v61
	v_fma_f32 v24, -0.5, v2, v10
	v_mov_b32_e32 v67, v24
	v_fmac_f32_e32 v67, 0x3f737871, v1
	v_fmac_f32_e32 v24, 0xbf737871, v1
	;; [unrolled: 1-line block ×4, first 2 shown]
	v_add_f32_e32 v0, v11, v44
	v_add_f32_e32 v0, v0, v54
	;; [unrolled: 1-line block ×3, first 2 shown]
	v_sub_f32_e32 v2, v53, v43
	v_sub_f32_e32 v6, v57, v61
	v_add_f32_e32 v17, v0, v62
	v_add_f32_e32 v0, v54, v58
	;; [unrolled: 1-line block ×3, first 2 shown]
	v_fma_f32 v6, -0.5, v0, v11
	v_sub_f32_e32 v0, v43, v61
	v_mov_b32_e32 v21, v6
	v_fmac_f32_e32 v67, 0x3e9e377a, v2
	v_fmac_f32_e32 v24, 0x3e9e377a, v2
	;; [unrolled: 1-line block ×3, first 2 shown]
	v_sub_f32_e32 v1, v53, v57
	v_sub_f32_e32 v2, v44, v54
	;; [unrolled: 1-line block ×3, first 2 shown]
	v_fmac_f32_e32 v6, 0xbf737871, v0
	v_fmac_f32_e32 v21, 0x3f167918, v1
	v_add_f32_e32 v2, v2, v9
	v_fmac_f32_e32 v6, 0xbf167918, v1
	v_fmac_f32_e32 v21, 0x3e9e377a, v2
	;; [unrolled: 1-line block ×3, first 2 shown]
	v_add_f32_e32 v2, v44, v62
	v_fma_f32 v25, -0.5, v2, v11
	v_mov_b32_e32 v68, v25
	v_fmac_f32_e32 v68, 0xbf737871, v1
	v_fmac_f32_e32 v25, 0x3f737871, v1
	;; [unrolled: 1-line block ×4, first 2 shown]
	v_add_f32_e32 v0, v12, v45
	v_add_f32_e32 v0, v0, v55
	;; [unrolled: 1-line block ×5, first 2 shown]
	v_sub_f32_e32 v2, v54, v44
	v_sub_f32_e32 v9, v58, v62
	v_fma_f32 v53, -0.5, v0, v12
	v_add_f32_e32 v2, v2, v9
	v_sub_f32_e32 v0, v46, v64
	v_mov_b32_e32 v57, v53
	v_fmac_f32_e32 v68, 0x3e9e377a, v2
	v_fmac_f32_e32 v25, 0x3e9e377a, v2
	;; [unrolled: 1-line block ×3, first 2 shown]
	v_sub_f32_e32 v1, v56, v60
	v_sub_f32_e32 v2, v45, v55
	;; [unrolled: 1-line block ×3, first 2 shown]
	v_fmac_f32_e32 v53, 0x3f737871, v0
	v_fmac_f32_e32 v57, 0xbf167918, v1
	v_add_f32_e32 v2, v2, v9
	v_fmac_f32_e32 v53, 0x3f167918, v1
	v_fmac_f32_e32 v57, 0x3e9e377a, v2
	;; [unrolled: 1-line block ×3, first 2 shown]
	v_add_f32_e32 v2, v45, v63
	v_fma_f32 v12, -0.5, v2, v12
	v_mov_b32_e32 v61, v12
	v_fmac_f32_e32 v61, 0x3f737871, v1
	v_fmac_f32_e32 v12, 0xbf737871, v1
	;; [unrolled: 1-line block ×4, first 2 shown]
	v_add_f32_e32 v0, v13, v46
	v_add_f32_e32 v0, v0, v56
	;; [unrolled: 1-line block ×5, first 2 shown]
	v_sub_f32_e32 v2, v55, v45
	v_sub_f32_e32 v9, v59, v63
	v_fma_f32 v54, -0.5, v0, v13
	v_add_f32_e32 v2, v2, v9
	v_sub_f32_e32 v0, v45, v63
	v_mov_b32_e32 v58, v54
	v_fmac_f32_e32 v61, 0x3e9e377a, v2
	v_fmac_f32_e32 v12, 0x3e9e377a, v2
	;; [unrolled: 1-line block ×3, first 2 shown]
	v_sub_f32_e32 v1, v55, v59
	v_sub_f32_e32 v2, v46, v56
	;; [unrolled: 1-line block ×3, first 2 shown]
	v_fmac_f32_e32 v54, 0xbf737871, v0
	v_fmac_f32_e32 v58, 0x3f167918, v1
	v_add_f32_e32 v2, v2, v9
	v_fmac_f32_e32 v54, 0xbf167918, v1
	v_fmac_f32_e32 v58, 0x3e9e377a, v2
	;; [unrolled: 1-line block ×3, first 2 shown]
	v_add_f32_e32 v2, v46, v64
	v_fmac_f32_e32 v13, -0.5, v2
	v_mov_b32_e32 v62, v13
	v_fmac_f32_e32 v62, 0xbf737871, v1
	v_sub_f32_e32 v2, v56, v46
	v_sub_f32_e32 v9, v60, v64
	v_fmac_f32_e32 v13, 0x3f737871, v1
	v_add_f32_e32 v1, v18, v22
	v_fmac_f32_e32 v62, 0x3f167918, v0
	v_add_f32_e32 v2, v2, v9
	v_fmac_f32_e32 v13, 0xbf167918, v0
	v_fma_f32 v45, -0.5, v1, v3
	v_fmac_f32_e32 v62, 0x3e9e377a, v2
	v_fmac_f32_e32 v13, 0x3e9e377a, v2
	v_sub_f32_e32 v1, v15, v66
	v_mov_b32_e32 v2, v45
	v_fmac_f32_e32 v2, 0xbf737871, v1
	v_sub_f32_e32 v10, v19, v23
	v_sub_f32_e32 v9, v14, v18
	;; [unrolled: 1-line block ×3, first 2 shown]
	v_fmac_f32_e32 v45, 0x3f737871, v1
	v_fmac_f32_e32 v2, 0xbf167918, v10
	v_add_f32_e32 v9, v9, v11
	v_fmac_f32_e32 v45, 0x3f167918, v10
	v_fmac_f32_e32 v2, 0x3e9e377a, v9
	;; [unrolled: 1-line block ×3, first 2 shown]
	v_add_f32_e32 v9, v14, v65
	v_fma_f32 v11, -0.5, v9, v3
	v_mov_b32_e32 v9, v11
	v_add_f32_e32 v0, v3, v14
	v_fmac_f32_e32 v9, 0x3f737871, v10
	v_sub_f32_e32 v3, v18, v14
	v_sub_f32_e32 v46, v22, v65
	v_fmac_f32_e32 v11, 0xbf737871, v10
	v_fmac_f32_e32 v9, 0xbf167918, v1
	v_add_f32_e32 v3, v3, v46
	v_fmac_f32_e32 v11, 0x3f167918, v1
	v_fmac_f32_e32 v9, 0x3e9e377a, v3
	;; [unrolled: 1-line block ×3, first 2 shown]
	v_add_f32_e32 v3, v19, v23
	v_fma_f32 v46, -0.5, v3, v4
	v_add_f32_e32 v0, v0, v18
	v_sub_f32_e32 v14, v14, v65
	v_mov_b32_e32 v3, v46
	v_add_f32_e32 v0, v0, v22
	v_fmac_f32_e32 v3, 0x3f737871, v14
	v_sub_f32_e32 v18, v18, v22
	v_sub_f32_e32 v10, v15, v19
	;; [unrolled: 1-line block ×3, first 2 shown]
	v_fmac_f32_e32 v46, 0xbf737871, v14
	v_fmac_f32_e32 v3, 0x3f167918, v18
	v_add_f32_e32 v10, v10, v22
	v_fmac_f32_e32 v46, 0xbf167918, v18
	v_fmac_f32_e32 v3, 0x3e9e377a, v10
	v_fmac_f32_e32 v46, 0x3e9e377a, v10
	v_add_f32_e32 v10, v15, v66
	v_add_f32_e32 v1, v4, v15
	v_fmac_f32_e32 v4, -0.5, v10
	v_mov_b32_e32 v10, v4
	v_add_f32_e32 v1, v1, v19
	v_fmac_f32_e32 v10, 0xbf737871, v18
	v_sub_f32_e32 v15, v19, v15
	v_sub_f32_e32 v19, v23, v66
	v_fmac_f32_e32 v4, 0x3f737871, v18
	v_fmac_f32_e32 v10, 0x3f167918, v14
	v_add_f32_e32 v15, v15, v19
	v_fmac_f32_e32 v4, 0xbf167918, v14
	v_mad_u32_u24 v14, v39, 40, 0
	v_fmac_f32_e32 v10, 0x3e9e377a, v15
	v_fmac_f32_e32 v4, 0x3e9e377a, v15
	v_add_u32_e32 v15, v14, v49
	s_barrier
	ds_write2_b64 v15, v[28:29], v[30:31] offset1:1
	ds_write2_b64 v15, v[32:33], v[7:8] offset0:2 offset1:3
	ds_write_b64 v15, v[26:27] offset:32
	v_add_u32_e32 v7, 0xbb8, v15
	ds_write2_b64 v7, v[16:17], v[20:21] offset1:1
	v_add_u32_e32 v7, 0xbc8, v15
	v_add_f32_e32 v1, v1, v23
	ds_write2_b64 v7, v[67:68], v[24:25] offset1:1
	ds_write_b64 v15, v[5:6] offset:3032
	v_add_u32_e32 v5, 0x1770, v14
	v_add_f32_e32 v0, v0, v65
	v_add_f32_e32 v1, v1, v66
	v_add_u32_e32 v6, v5, v49
	ds_write2_b64 v6, v[43:44], v[57:58] offset1:1
	ds_write2_b64 v6, v[61:62], v[12:13] offset0:2 offset1:3
	ds_write_b64 v6, v[53:54] offset:32
	s_and_saveexec_b64 s[2:3], vcc
	s_cbranch_execz .LBB0_20
; %bb.19:
	v_lshl_add_u32 v5, v48, 3, v5
	ds_write_b64 v5, v[0:1] offset:3000
	v_add_u32_e32 v5, 0x800, v5
	ds_write2_b32 v5, v2, v3 offset0:240 offset1:241
	ds_write2_b32 v5, v9, v10 offset0:242 offset1:243
	;; [unrolled: 1-line block ×4, first 2 shown]
.LBB0_20:
	s_or_b64 exec, exec, s[2:3]
	v_add_u32_e32 v5, 0x400, v40
	s_waitcnt lgkmcnt(0)
	s_barrier
	ds_read_b64 v[43:44], v50
	ds_read2_b64 v[29:32], v5 offset0:112 offset1:187
	ds_read2_b64 v[25:28], v36 offset0:134 offset1:224
	v_add_u32_e32 v5, 0x1400, v40
	ds_read2_b64 v[21:24], v5 offset0:80 offset1:155
	ds_read2_b64 v[13:16], v35 offset0:102 offset1:192
	;; [unrolled: 1-line block ×5, first 2 shown]
	s_and_saveexec_b64 s[2:3], vcc
	s_cbranch_execz .LBB0_22
; %bb.21:
	v_add_u32_e32 v0, 0x700, v40
	v_add_u32_e32 v4, 0x1600, v40
	ds_read2_b64 v[0:3], v0 offset0:1 offset1:241
	ds_read2_b64 v[9:12], v4 offset0:1 offset1:241
	ds_read_b64 v[45:46], v40 offset:9480
	s_waitcnt lgkmcnt(1)
	v_mov_b32_e32 v4, v12
.LBB0_22:
	s_or_b64 exec, exec, s[2:3]
	s_movk_i32 s6, 0xcd
	v_add_u32_e32 v52, 0x4b, v39
	v_mul_lo_u16_sdwa v12, v39, s6 dst_sel:DWORD dst_unused:UNUSED_PAD src0_sel:BYTE_0 src1_sel:DWORD
	v_mul_lo_u16_sdwa v53, v52, s6 dst_sel:DWORD dst_unused:UNUSED_PAD src0_sel:BYTE_0 src1_sel:DWORD
	v_lshrrev_b16_e32 v59, 10, v12
	v_lshrrev_b16_e32 v57, 10, v53
	v_mul_lo_u16_e32 v12, 5, v59
	v_mul_lo_u16_e32 v53, 5, v57
	v_sub_u16_e32 v60, v39, v12
	v_mov_b32_e32 v12, 5
	v_sub_u16_e32 v58, v52, v53
	v_add_u32_e32 v53, 0x96, v39
	v_lshlrev_b32_sdwa v54, v12, v60 dst_sel:DWORD dst_unused:UNUSED_PAD src0_sel:DWORD src1_sel:BYTE_0
	v_mul_lo_u16_sdwa v55, v53, s6 dst_sel:DWORD dst_unused:UNUSED_PAD src0_sel:BYTE_0 src1_sel:DWORD
	global_load_dwordx4 v[61:64], v54, s[12:13]
	v_lshlrev_b32_sdwa v77, v12, v58 dst_sel:DWORD dst_unused:UNUSED_PAD src0_sel:DWORD src1_sel:BYTE_0
	global_load_dwordx4 v[65:68], v77, s[12:13]
	v_lshrrev_b16_e32 v55, 10, v55
	v_mul_lo_u16_e32 v56, 5, v55
	v_sub_u16_e32 v56, v53, v56
	v_lshlrev_b32_sdwa v81, v12, v56 dst_sel:DWORD dst_unused:UNUSED_PAD src0_sel:DWORD src1_sel:BYTE_0
	global_load_dwordx4 v[69:72], v81, s[12:13]
	global_load_dwordx4 v[73:76], v54, s[12:13] offset:16
	s_mov_b32 s2, 0xcccd
	v_add_u32_e32 v54, 0xe1, v39
	v_mul_u32_u24_sdwa v12, v54, s2 dst_sel:DWORD dst_unused:UNUSED_PAD src0_sel:WORD_0 src1_sel:DWORD
	v_lshrrev_b32_e32 v12, 18, v12
	v_mul_lo_u16_e32 v12, 5, v12
	v_sub_u16_e32 v12, v54, v12
	global_load_dwordx4 v[77:80], v77, s[12:13] offset:16
	s_movk_i32 s7, 0xc8
	s_waitcnt vmcnt(4) lgkmcnt(5)
	v_mul_f32_e32 v83, v64, v28
	v_mul_f32_e32 v82, v62, v30
	;; [unrolled: 1-line block ×3, first 2 shown]
	v_fmac_f32_e32 v83, v63, v27
	s_waitcnt vmcnt(3)
	v_mul_f32_e32 v27, v66, v31
	v_mul_f32_e32 v62, v62, v29
	v_fmac_f32_e32 v82, v61, v29
	v_fma_f32 v29, v65, v32, -v27
	s_waitcnt lgkmcnt(1)
	v_mul_f32_e32 v27, v68, v33
	v_fma_f32 v84, v61, v30, -v62
	v_fma_f32 v85, v63, v28, -v64
	v_mul_f32_e32 v61, v66, v32
	v_fma_f32 v30, v67, v34, -v27
	s_waitcnt vmcnt(2)
	v_mul_f32_e32 v27, v26, v70
	v_mul_f32_e32 v28, v25, v70
	v_fmac_f32_e32 v61, v65, v31
	v_lshlrev_b32_e32 v66, 5, v12
	v_mul_f32_e32 v31, v68, v34
	v_fmac_f32_e32 v27, v25, v69
	v_fma_f32 v25, v26, v69, -v28
	v_mul_f32_e32 v28, v36, v72
	v_fmac_f32_e32 v31, v67, v33
	global_load_dwordx4 v[62:65], v81, s[12:13] offset:16
	v_mul_f32_e32 v26, v35, v72
	v_fmac_f32_e32 v28, v35, v71
	global_load_dwordx4 v[32:35], v66, s[12:13] offset:16
	s_waitcnt vmcnt(3)
	v_mul_f32_e32 v67, v74, v21
	v_mul_f32_e32 v68, v76, v15
	v_fma_f32 v26, v36, v71, -v26
	v_fma_f32 v71, v73, v22, -v67
	;; [unrolled: 1-line block ×3, first 2 shown]
	global_load_dwordx4 v[66:69], v66, s[12:13]
	v_mul_f32_e32 v70, v76, v16
	v_mul_f32_e32 v36, v74, v22
	v_fmac_f32_e32 v70, v75, v15
	s_waitcnt vmcnt(3)
	v_mul_f32_e32 v15, v78, v23
	v_fmac_f32_e32 v36, v73, v21
	v_mul_f32_e32 v73, v78, v24
	v_fma_f32 v75, v77, v24, -v15
	s_waitcnt lgkmcnt(0)
	v_mul_f32_e32 v15, v17, v80
	v_fmac_f32_e32 v73, v77, v23
	v_fma_f32 v76, v18, v79, -v15
	v_mul_f32_e32 v74, v18, v80
	v_fmac_f32_e32 v74, v17, v79
	s_waitcnt vmcnt(0)
	s_barrier
	v_mul_f32_e32 v21, v14, v63
	v_mul_f32_e32 v23, v13, v63
	v_fmac_f32_e32 v21, v13, v62
	v_mul_f32_e32 v24, v11, v33
	v_mul_f32_e32 v15, v4, v33
	v_fma_f32 v13, v4, v32, -v24
	v_fmac_f32_e32 v15, v11, v32
	v_sub_f32_e32 v11, v70, v36
	v_mul_f32_e32 v22, v20, v65
	v_mul_f32_e32 v4, v10, v69
	v_fmac_f32_e32 v4, v9, v68
	v_mul_f32_e32 v9, v9, v69
	v_fma_f32 v10, v10, v68, -v9
	v_mul_f32_e32 v9, v3, v67
	v_fmac_f32_e32 v9, v2, v66
	v_mul_f32_e32 v2, v2, v67
	v_fma_f32 v3, v3, v66, -v2
	v_sub_f32_e32 v2, v82, v83
	v_add_f32_e32 v11, v2, v11
	v_add_f32_e32 v2, v43, v82
	v_mul_f32_e32 v18, v19, v65
	v_fmac_f32_e32 v22, v19, v64
	v_add_f32_e32 v2, v2, v83
	v_add_f32_e32 v19, v44, v84
	;; [unrolled: 1-line block ×4, first 2 shown]
	v_fma_f32 v18, v20, v64, -v18
	v_add_f32_e32 v20, v19, v71
	v_add_f32_e32 v19, v2, v70
	;; [unrolled: 1-line block ×3, first 2 shown]
	v_fma_f32 v17, v14, v62, -v23
	v_fma_f32 v23, -0.5, v2, v43
	v_add_f32_e32 v2, v85, v71
	v_mul_f32_e32 v16, v46, v35
	v_mul_f32_e32 v14, v45, v35
	v_fma_f32 v24, -0.5, v2, v44
	v_sub_f32_e32 v2, v84, v85
	v_sub_f32_e32 v32, v72, v71
	v_fmac_f32_e32 v16, v45, v34
	v_fma_f32 v14, v46, v34, -v14
	v_add_f32_e32 v34, v2, v32
	v_mov_b32_e32 v2, 3
	v_mad_u32_u24 v32, v59, s7, 0
	v_lshlrev_b32_sdwa v33, v2, v60 dst_sel:DWORD dst_unused:UNUSED_PAD src0_sel:DWORD src1_sel:BYTE_0
	v_add3_u32 v77, v32, v33, v49
	v_sub_f32_e32 v35, v84, v72
	v_mov_b32_e32 v32, v23
	v_mov_b32_e32 v33, v24
	v_sub_f32_e32 v46, v82, v70
	v_fmac_f32_e32 v32, 0xbf737871, v35
	v_sub_f32_e32 v45, v85, v71
	v_fmac_f32_e32 v33, 0x3f737871, v46
	;; [unrolled: 2-line block ×3, first 2 shown]
	v_fmac_f32_e32 v32, 0xbf167918, v45
	v_fmac_f32_e32 v33, 0x3f167918, v59
	;; [unrolled: 1-line block ×3, first 2 shown]
	v_add_f32_e32 v20, v20, v72
	v_fmac_f32_e32 v32, 0x3e9e377a, v11
	v_fmac_f32_e32 v33, 0x3e9e377a, v34
	;; [unrolled: 1-line block ×3, first 2 shown]
	v_add_f32_e32 v11, v82, v70
	ds_write2_b64 v77, v[19:20], v[32:33] offset1:5
	v_fma_f32 v43, -0.5, v11, v43
	v_sub_f32_e32 v11, v83, v82
	v_sub_f32_e32 v19, v36, v70
	v_add_f32_e32 v11, v11, v19
	v_mov_b32_e32 v19, v43
	v_fmac_f32_e32 v19, 0x3f737871, v45
	v_fmac_f32_e32 v43, 0xbf737871, v45
	;; [unrolled: 1-line block ×6, first 2 shown]
	v_add_f32_e32 v11, v84, v72
	v_fmac_f32_e32 v44, -0.5, v11
	v_sub_f32_e32 v11, v85, v84
	v_sub_f32_e32 v20, v71, v72
	v_add_f32_e32 v11, v11, v20
	v_mov_b32_e32 v20, v44
	v_fmac_f32_e32 v20, 0xbf737871, v59
	v_fmac_f32_e32 v44, 0x3f737871, v59
	;; [unrolled: 1-line block ×6, first 2 shown]
	v_sub_f32_e32 v11, v61, v31
	v_sub_f32_e32 v32, v74, v73
	v_fmac_f32_e32 v24, 0xbf737871, v46
	v_add_f32_e32 v11, v11, v32
	v_add_f32_e32 v32, v31, v73
	v_fmac_f32_e32 v24, 0xbf167918, v59
	v_fma_f32 v32, -0.5, v32, v5
	v_fmac_f32_e32 v24, 0x3e9e377a, v34
	v_sub_f32_e32 v33, v29, v76
	v_mov_b32_e32 v34, v32
	v_fmac_f32_e32 v34, 0xbf737871, v33
	v_sub_f32_e32 v35, v30, v75
	v_fmac_f32_e32 v32, 0x3f737871, v33
	v_fmac_f32_e32 v34, 0xbf167918, v35
	;; [unrolled: 1-line block ×5, first 2 shown]
	v_sub_f32_e32 v11, v31, v61
	v_sub_f32_e32 v36, v73, v74
	v_add_f32_e32 v11, v11, v36
	v_add_f32_e32 v36, v61, v74
	v_fma_f32 v45, -0.5, v36, v5
	v_mov_b32_e32 v59, v45
	v_fmac_f32_e32 v59, 0x3f737871, v35
	v_fmac_f32_e32 v45, 0xbf737871, v35
	;; [unrolled: 1-line block ×4, first 2 shown]
	v_add_f32_e32 v5, v5, v61
	v_fmac_f32_e32 v59, 0x3e9e377a, v11
	v_fmac_f32_e32 v45, 0x3e9e377a, v11
	v_add_f32_e32 v5, v5, v31
	v_add_f32_e32 v11, v6, v29
	;; [unrolled: 1-line block ×8, first 2 shown]
	v_fma_f32 v33, -0.5, v5, v6
	v_sub_f32_e32 v11, v31, v73
	v_sub_f32_e32 v31, v29, v30
	;; [unrolled: 1-line block ×4, first 2 shown]
	v_add_f32_e32 v31, v31, v35
	v_mov_b32_e32 v35, v33
	v_fmac_f32_e32 v35, 0x3f737871, v5
	v_fmac_f32_e32 v33, 0xbf737871, v5
	;; [unrolled: 1-line block ×6, first 2 shown]
	v_add_f32_e32 v31, v29, v76
	v_fma_f32 v46, -0.5, v31, v6
	v_mov_b32_e32 v60, v46
	v_sub_f32_e32 v6, v30, v29
	v_sub_f32_e32 v29, v75, v76
	v_fmac_f32_e32 v60, 0xbf737871, v11
	v_fmac_f32_e32 v46, 0x3f737871, v11
	v_add_f32_e32 v6, v6, v29
	v_fmac_f32_e32 v60, 0x3f167918, v5
	v_fmac_f32_e32 v46, 0xbf167918, v5
	;; [unrolled: 1-line block ×4, first 2 shown]
	v_sub_f32_e32 v5, v27, v28
	v_sub_f32_e32 v6, v22, v21
	v_add_f32_e32 v5, v5, v6
	v_add_f32_e32 v6, v28, v21
	v_fma_f32 v64, -0.5, v6, v7
	v_sub_f32_e32 v6, v25, v18
	v_mov_b32_e32 v66, v64
	v_fmac_f32_e32 v66, 0xbf737871, v6
	v_sub_f32_e32 v11, v26, v17
	v_fmac_f32_e32 v64, 0x3f737871, v6
	v_fmac_f32_e32 v66, 0xbf167918, v11
	;; [unrolled: 1-line block ×3, first 2 shown]
	v_add_f32_e32 v29, v27, v22
	v_fmac_f32_e32 v66, 0x3e9e377a, v5
	v_fmac_f32_e32 v64, 0x3e9e377a, v5
	v_add_f32_e32 v5, v7, v27
	v_fma_f32 v7, -0.5, v29, v7
	v_mov_b32_e32 v68, v7
	v_add_f32_e32 v5, v5, v28
	v_fmac_f32_e32 v68, 0x3f737871, v11
	v_fmac_f32_e32 v7, 0xbf737871, v11
	v_add_f32_e32 v5, v5, v21
	v_fmac_f32_e32 v68, 0xbf167918, v6
	v_fmac_f32_e32 v7, 0x3f167918, v6
	v_add_f32_e32 v6, v8, v25
	v_add_f32_e32 v70, v5, v22
	v_add_f32_e32 v5, v26, v17
	v_add_f32_e32 v6, v6, v26
	v_fma_f32 v65, -0.5, v5, v8
	v_add_f32_e32 v6, v6, v17
	v_sub_f32_e32 v5, v27, v22
	v_mov_b32_e32 v67, v65
	v_sub_f32_e32 v30, v21, v22
	v_add_f32_e32 v71, v6, v18
	v_sub_f32_e32 v6, v28, v21
	v_sub_f32_e32 v11, v25, v26
	;; [unrolled: 1-line block ×3, first 2 shown]
	v_fmac_f32_e32 v67, 0x3f737871, v5
	v_fmac_f32_e32 v65, 0xbf737871, v5
	v_add_f32_e32 v11, v11, v21
	v_fmac_f32_e32 v67, 0x3f167918, v6
	v_fmac_f32_e32 v65, 0xbf167918, v6
	;; [unrolled: 1-line block ×4, first 2 shown]
	v_add_f32_e32 v11, v25, v18
	v_fmac_f32_e32 v8, -0.5, v11
	v_mov_b32_e32 v69, v8
	v_sub_f32_e32 v11, v26, v25
	v_sub_f32_e32 v17, v17, v18
	v_fmac_f32_e32 v69, 0xbf737871, v6
	v_fmac_f32_e32 v8, 0x3f737871, v6
	v_add_f32_e32 v11, v11, v17
	v_fmac_f32_e32 v69, 0x3f167918, v5
	v_fmac_f32_e32 v8, 0xbf167918, v5
	ds_write2_b64 v77, v[19:20], v[43:44] offset0:10 offset1:15
	v_mad_u32_u24 v19, v57, s7, 0
	v_lshlrev_b32_sdwa v20, v2, v58 dst_sel:DWORD dst_unused:UNUSED_PAD src0_sel:DWORD src1_sel:BYTE_0
	v_fmac_f32_e32 v69, 0x3e9e377a, v11
	v_fmac_f32_e32 v8, 0x3e9e377a, v11
	ds_write_b64 v77, v[23:24] offset:160
	v_sub_f32_e32 v11, v9, v4
	v_sub_f32_e32 v18, v16, v15
	v_add3_u32 v26, v19, v20, v49
	v_sub_f32_e32 v19, v4, v9
	v_sub_f32_e32 v20, v15, v16
	v_sub_f32_e32 v24, v10, v3
	v_sub_f32_e32 v25, v13, v14
	v_sub_f32_e32 v29, v28, v27
	v_add_f32_e32 v5, v4, v15
	v_add_f32_e32 v18, v11, v18
	;; [unrolled: 1-line block ×8, first 2 shown]
	v_fma_f32 v5, -0.5, v5, v0
	v_fma_f32 v11, -0.5, v11, v0
	v_fma_f32 v19, -0.5, v19, v1
	v_sub_f32_e32 v22, v3, v10
	v_sub_f32_e32 v23, v14, v13
	v_fma_f32 v25, -0.5, v25, v1
	v_fmac_f32_e32 v68, 0x3e9e377a, v29
	v_fmac_f32_e32 v7, 0x3e9e377a, v29
	v_sub_f32_e32 v6, v3, v14
	v_mov_b32_e32 v28, v5
	v_sub_f32_e32 v17, v10, v13
	v_mov_b32_e32 v30, v11
	;; [unrolled: 2-line block ×3, first 2 shown]
	v_add_f32_e32 v23, v22, v23
	v_sub_f32_e32 v22, v4, v15
	v_mov_b32_e32 v31, v25
	v_fmac_f32_e32 v28, 0xbf737871, v6
	v_fmac_f32_e32 v30, 0x3f737871, v17
	;; [unrolled: 1-line block ×5, first 2 shown]
	ds_write2_b64 v26, v[62:63], v[34:35] offset1:5
	v_fmac_f32_e32 v30, 0xbf167918, v6
	ds_write2_b64 v26, v[59:60], v[45:46] offset0:10 offset1:15
	v_fmac_f32_e32 v29, 0x3f167918, v22
	v_fmac_f32_e32 v31, 0x3f167918, v20
	ds_write_b64 v26, v[32:33] offset:160
	v_mad_u32_u24 v26, v55, s7, 0
	v_lshlrev_b32_sdwa v27, v2, v56 dst_sel:DWORD dst_unused:UNUSED_PAD src0_sel:DWORD src1_sel:BYTE_0
	v_fmac_f32_e32 v28, 0x3e9e377a, v18
	v_fmac_f32_e32 v30, 0x3e9e377a, v21
	;; [unrolled: 1-line block ×4, first 2 shown]
	v_add3_u32 v26, v26, v27, v49
	ds_write2_b64 v26, v[70:71], v[66:67] offset1:5
	ds_write2_b64 v26, v[68:69], v[7:8] offset0:10 offset1:15
	ds_write_b64 v26, v[64:65] offset:160
	s_and_saveexec_b64 s[2:3], vcc
	s_cbranch_execz .LBB0_24
; %bb.23:
	v_mul_f32_e32 v26, 0x3f167918, v17
	v_mul_f32_e32 v17, 0x3f737871, v17
	;; [unrolled: 1-line block ×4, first 2 shown]
	v_add_f32_e32 v1, v1, v3
	v_sub_f32_e32 v3, v11, v17
	v_mul_f32_e32 v21, 0x3e9e377a, v21
	v_add_f32_e32 v3, v6, v3
	v_add_f32_e32 v6, v21, v3
	;; [unrolled: 1-line block ×3, first 2 shown]
	v_mul_f32_e32 v27, 0x3e9e377a, v18
	v_add_f32_e32 v3, v26, v3
	v_add_f32_e32 v17, v27, v3
	;; [unrolled: 1-line block ×3, first 2 shown]
	v_mul_lo_u16_sdwa v3, v54, s6 dst_sel:DWORD dst_unused:UNUSED_PAD src0_sel:BYTE_0 src1_sel:DWORD
	v_mul_f32_e32 v18, 0x3f737871, v20
	v_mul_f32_e32 v7, 0x3f737871, v22
	v_add_f32_e32 v1, v1, v10
	v_add_f32_e32 v0, v0, v4
	v_lshrrev_b16_e32 v3, 10, v3
	v_mul_f32_e32 v32, 0x3f167918, v22
	v_mul_f32_e32 v20, 0x3f167918, v20
	v_add_f32_e32 v7, v7, v25
	v_sub_f32_e32 v18, v19, v18
	v_add_f32_e32 v1, v1, v13
	v_add_f32_e32 v0, v0, v15
	v_mad_u32_u24 v3, v3, s7, 0
	v_lshlrev_b32_e32 v4, 3, v12
	v_mul_f32_e32 v23, 0x3e9e377a, v23
	v_mul_f32_e32 v22, 0x3e9e377a, v24
	v_sub_f32_e32 v7, v7, v20
	v_sub_f32_e32 v18, v18, v32
	v_add_f32_e32 v1, v1, v14
	v_add_f32_e32 v0, v0, v16
	v_add3_u32 v3, v3, v4, v49
	v_add_f32_e32 v7, v22, v7
	v_add_f32_e32 v18, v23, v18
	ds_write2_b64 v3, v[0:1], v[28:29] offset1:5
	ds_write2_b64 v3, v[30:31], v[6:7] offset0:10 offset1:15
	ds_write_b64 v3, v[17:18] offset:160
.LBB0_24:
	s_or_b64 exec, exec, s[2:3]
	v_mov_b32_e32 v43, 41
	v_mul_lo_u16_sdwa v43, v39, v43 dst_sel:DWORD dst_unused:UNUSED_PAD src0_sel:BYTE_0 src1_sel:DWORD
	v_lshrrev_b16_e32 v71, 10, v43
	v_mul_lo_u16_e32 v43, 25, v71
	v_sub_u16_e32 v72, v39, v43
	v_mov_b32_e32 v43, 15
	v_mul_u32_u24_sdwa v43, v72, v43 dst_sel:DWORD dst_unused:UNUSED_PAD src0_sel:BYTE_0 src1_sel:DWORD
	v_add_u32_e32 v0, 0x400, v40
	v_add_u32_e32 v36, 0x800, v40
	;; [unrolled: 1-line block ×5, first 2 shown]
	v_lshlrev_b32_e32 v73, 3, v43
	s_waitcnt lgkmcnt(0)
	s_barrier
	ds_read_b64 v[67:68], v50
	ds_read2_b64 v[4:7], v40 offset0:75 offset1:150
	ds_read2_b64 v[8:11], v0 offset0:97 offset1:172
	;; [unrolled: 1-line block ×7, first 2 shown]
	ds_read_b64 v[69:70], v40 offset:9000
	global_load_dwordx4 v[43:46], v73, s[12:13] offset:208
	global_load_dwordx4 v[55:58], v73, s[12:13] offset:192
	;; [unrolled: 1-line block ×4, first 2 shown]
	s_movk_i32 s2, 0xc80
	v_lshlrev_b32_sdwa v2, v2, v72 dst_sel:DWORD dst_unused:UNUSED_PAD src0_sel:DWORD src1_sel:BYTE_0
	v_cmp_gt_u32_e32 vcc, 25, v39
	s_waitcnt vmcnt(0) lgkmcnt(7)
	v_mul_f32_e32 v74, v64, v5
	v_fmac_f32_e32 v74, v63, v4
	v_mul_f32_e32 v4, v64, v4
	v_fma_f32 v63, v63, v5, -v4
	v_mul_f32_e32 v64, v66, v7
	v_mul_f32_e32 v4, v66, v6
	v_fmac_f32_e32 v64, v65, v6
	v_fma_f32 v65, v65, v7, -v4
	s_waitcnt lgkmcnt(6)
	v_mul_f32_e32 v66, v60, v9
	v_mul_f32_e32 v4, v60, v8
	v_fmac_f32_e32 v66, v59, v8
	v_fma_f32 v59, v59, v9, -v4
	v_mul_f32_e32 v60, v11, v62
	v_mul_f32_e32 v4, v10, v62
	v_fmac_f32_e32 v60, v10, v61
	v_fma_f32 v61, v11, v61, -v4
	s_waitcnt lgkmcnt(5)
	v_mul_f32_e32 v62, v13, v56
	v_mul_f32_e32 v4, v12, v56
	v_fmac_f32_e32 v62, v12, v55
	;; [unrolled: 9-line block ×3, first 2 shown]
	v_fma_f32 v43, v17, v43, -v4
	v_mul_f32_e32 v44, v19, v46
	v_mul_f32_e32 v4, v18, v46
	v_fmac_f32_e32 v44, v18, v45
	v_fma_f32 v18, v19, v45, -v4
	global_load_dwordx2 v[16:17], v73, s[12:13] offset:272
	global_load_dwordx4 v[4:7], v73, s[12:13] offset:256
	global_load_dwordx4 v[8:11], v73, s[12:13] offset:240
	;; [unrolled: 1-line block ×3, first 2 shown]
	v_sub_f32_e32 v18, v68, v18
	s_waitcnt vmcnt(0) lgkmcnt(0)
	s_barrier
	v_mul_f32_e32 v19, v21, v13
	v_mul_f32_e32 v13, v20, v13
	v_fmac_f32_e32 v19, v20, v12
	v_fma_f32 v12, v21, v12, -v13
	v_mul_f32_e32 v13, v23, v15
	v_mul_f32_e32 v15, v22, v15
	v_fmac_f32_e32 v13, v22, v14
	v_fma_f32 v14, v23, v14, -v15
	;; [unrolled: 4-line block ×6, first 2 shown]
	v_mul_f32_e32 v7, v70, v17
	v_fmac_f32_e32 v7, v69, v16
	v_mul_f32_e32 v17, v69, v17
	v_fma_f32 v16, v70, v16, -v17
	v_sub_f32_e32 v19, v74, v19
	v_sub_f32_e32 v11, v62, v11
	;; [unrolled: 1-line block ×9, first 2 shown]
	v_fma_f32 v32, v74, 2.0, -v19
	v_sub_f32_e32 v4, v55, v4
	v_fma_f32 v34, v62, 2.0, -v11
	v_sub_f32_e32 v8, v59, v8
	;; [unrolled: 2-line block ×3, first 2 shown]
	v_fma_f32 v46, v58, 2.0, -v7
	v_fma_f32 v21, v68, 2.0, -v18
	v_sub_f32_e32 v9, v60, v9
	v_fma_f32 v23, v61, 2.0, -v10
	v_sub_f32_e32 v14, v65, v14
	;; [unrolled: 2-line block ×3, first 2 shown]
	v_fma_f32 v26, v56, 2.0, -v5
	v_fma_f32 v33, v63, 2.0, -v12
	;; [unrolled: 1-line block ×5, first 2 shown]
	v_add_f32_e32 v10, v17, v10
	v_sub_f32_e32 v34, v32, v34
	v_sub_f32_e32 v46, v44, v46
	v_fma_f32 v20, v67, 2.0, -v17
	v_fma_f32 v22, v60, 2.0, -v9
	;; [unrolled: 1-line block ×4, first 2 shown]
	v_sub_f32_e32 v23, v21, v23
	v_sub_f32_e32 v9, v18, v9
	v_fma_f32 v17, v17, 2.0, -v10
	v_sub_f32_e32 v26, v24, v26
	v_add_f32_e32 v6, v13, v6
	v_sub_f32_e32 v35, v33, v35
	v_fma_f32 v32, v32, 2.0, -v34
	v_add_f32_e32 v4, v19, v4
	v_sub_f32_e32 v43, v45, v43
	v_fma_f32 v44, v44, 2.0, -v46
	v_mov_b32_e32 v59, v10
	v_sub_f32_e32 v22, v20, v22
	v_fma_f32 v18, v18, 2.0, -v9
	v_sub_f32_e32 v27, v25, v27
	v_fma_f32 v24, v24, 2.0, -v26
	;; [unrolled: 2-line block ×3, first 2 shown]
	v_fma_f32 v33, v33, 2.0, -v35
	v_sub_f32_e32 v11, v12, v11
	v_fma_f32 v19, v19, 2.0, -v4
	v_fma_f32 v45, v45, 2.0, -v43
	v_add_f32_e32 v16, v15, v16
	v_mov_b32_e32 v55, v17
	v_sub_f32_e32 v58, v23, v26
	v_fmac_f32_e32 v59, 0x3f3504f3, v6
	v_mov_b32_e32 v60, v9
	v_sub_f32_e32 v26, v32, v44
	v_fma_f32 v25, v25, 2.0, -v27
	v_fma_f32 v14, v14, 2.0, -v5
	;; [unrolled: 1-line block ×3, first 2 shown]
	v_sub_f32_e32 v7, v8, v7
	v_fma_f32 v15, v15, 2.0, -v16
	v_fmac_f32_e32 v55, 0xbf3504f3, v13
	v_mov_b32_e32 v56, v18
	v_add_f32_e32 v57, v22, v27
	v_fmac_f32_e32 v60, 0x3f3504f3, v5
	v_fmac_f32_e32 v59, 0x3f3504f3, v5
	v_sub_f32_e32 v27, v33, v45
	v_fma_f32 v5, v32, 2.0, -v26
	v_mov_b32_e32 v32, v19
	v_fma_f32 v8, v8, 2.0, -v7
	v_fmac_f32_e32 v56, 0xbf3504f3, v14
	v_fmac_f32_e32 v55, 0x3f3504f3, v14
	;; [unrolled: 1-line block ×3, first 2 shown]
	v_fma_f32 v6, v33, 2.0, -v27
	v_fmac_f32_e32 v32, 0xbf3504f3, v15
	v_mov_b32_e32 v33, v12
	v_fmac_f32_e32 v56, 0xbf3504f3, v13
	v_fma_f32 v13, v17, 2.0, -v55
	v_fmac_f32_e32 v33, 0xbf3504f3, v8
	v_fmac_f32_e32 v32, 0x3f3504f3, v8
	v_fma_f32 v20, v20, 2.0, -v22
	v_fma_f32 v14, v18, 2.0, -v56
	;; [unrolled: 1-line block ×4, first 2 shown]
	v_fmac_f32_e32 v33, 0xbf3504f3, v15
	v_fma_f32 v10, v19, 2.0, -v32
	v_mov_b32_e32 v8, v13
	v_fma_f32 v21, v21, 2.0, -v23
	v_fma_f32 v18, v23, 2.0, -v58
	;; [unrolled: 1-line block ×4, first 2 shown]
	v_add_f32_e32 v43, v34, v43
	v_fmac_f32_e32 v8, 0xbf6c835e, v10
	v_mov_b32_e32 v9, v14
	v_sub_f32_e32 v44, v35, v46
	v_fma_f32 v15, v34, 2.0, -v43
	v_mov_b32_e32 v45, v4
	v_mov_b32_e32 v46, v11
	v_fmac_f32_e32 v9, 0xbf6c835e, v12
	v_fmac_f32_e32 v8, 0x3ec3ef15, v12
	v_mov_b32_e32 v12, v17
	v_fma_f32 v19, v35, 2.0, -v44
	v_fmac_f32_e32 v45, 0x3f3504f3, v16
	v_fmac_f32_e32 v46, 0x3f3504f3, v7
	;; [unrolled: 1-line block ×3, first 2 shown]
	v_sub_f32_e32 v24, v20, v24
	v_sub_f32_e32 v25, v21, v25
	v_fmac_f32_e32 v45, 0x3f3504f3, v7
	v_fmac_f32_e32 v46, 0xbf3504f3, v16
	;; [unrolled: 1-line block ×4, first 2 shown]
	v_fma_f32 v20, v20, 2.0, -v24
	v_fma_f32 v21, v21, 2.0, -v25
	;; [unrolled: 1-line block ×6, first 2 shown]
	v_mov_b32_e32 v13, v18
	v_fma_f32 v14, v17, 2.0, -v12
	v_mov_b32_e32 v16, v22
	v_mov_b32_e32 v17, v23
	v_sub_f32_e32 v4, v20, v5
	v_sub_f32_e32 v5, v21, v6
	v_fmac_f32_e32 v13, 0xbf3504f3, v19
	v_fmac_f32_e32 v16, 0xbec3ef15, v34
	;; [unrolled: 1-line block ×3, first 2 shown]
	v_fma_f32 v6, v20, 2.0, -v4
	v_fma_f32 v7, v21, 2.0, -v5
	v_fmac_f32_e32 v13, 0xbf3504f3, v15
	v_fmac_f32_e32 v16, 0x3f6c835e, v35
	;; [unrolled: 1-line block ×3, first 2 shown]
	v_add_f32_e32 v20, v24, v27
	v_sub_f32_e32 v21, v25, v26
	v_fma_f32 v15, v18, 2.0, -v13
	v_fma_f32 v18, v22, 2.0, -v16
	;; [unrolled: 1-line block ×5, first 2 shown]
	v_mov_b32_e32 v24, v55
	v_mov_b32_e32 v25, v56
	v_fmac_f32_e32 v24, 0x3ec3ef15, v32
	v_fmac_f32_e32 v25, 0x3ec3ef15, v33
	;; [unrolled: 1-line block ×4, first 2 shown]
	v_mov_b32_e32 v34, v57
	v_mov_b32_e32 v35, v58
	;; [unrolled: 1-line block ×4, first 2 shown]
	v_fma_f32 v26, v55, 2.0, -v24
	v_fmac_f32_e32 v34, 0x3f3504f3, v43
	v_fmac_f32_e32 v35, 0x3f3504f3, v44
	;; [unrolled: 1-line block ×4, first 2 shown]
	v_mad_u32_u24 v55, v71, s2, 0
	v_fmac_f32_e32 v34, 0x3f3504f3, v44
	v_fmac_f32_e32 v35, 0xbf3504f3, v43
	;; [unrolled: 1-line block ×4, first 2 shown]
	v_add3_u32 v2, v55, v2, v49
	v_fma_f32 v27, v56, 2.0, -v25
	v_fma_f32 v43, v57, 2.0, -v34
	;; [unrolled: 1-line block ×5, first 2 shown]
	ds_write2_b64 v2, v[6:7], v[10:11] offset1:25
	ds_write2_b64 v2, v[14:15], v[18:19] offset0:50 offset1:75
	ds_write2_b64 v2, v[22:23], v[26:27] offset0:100 offset1:125
	;; [unrolled: 1-line block ×4, first 2 shown]
	v_add_u32_e32 v4, 0x400, v2
	v_add_u32_e32 v2, 0x800, v2
	ds_write2_b64 v4, v[12:13], v[16:17] offset0:122 offset1:147
	ds_write2_b64 v2, v[20:21], v[24:25] offset0:44 offset1:69
	;; [unrolled: 1-line block ×3, first 2 shown]
	v_add_u32_e32 v2, 0x1400, v40
	s_waitcnt lgkmcnt(0)
	s_barrier
	ds_read_b64 v[34:35], v50
	ds_read2_b64 v[12:15], v36 offset0:144 offset1:219
	ds_read2_b64 v[8:11], v2 offset0:60 offset1:160
	;; [unrolled: 1-line block ×6, first 2 shown]
	v_add_u32_e32 v24, 0x2000, v40
	ds_read2_b64 v[24:27], v24 offset0:1 offset1:76
	s_and_saveexec_b64 s[2:3], vcc
	s_cbranch_execz .LBB0_26
; %bb.25:
	ds_read_b64 v[32:33], v40 offset:3000
	ds_read_b64 v[28:29], v40 offset:6200
	;; [unrolled: 1-line block ×3, first 2 shown]
.LBB0_26:
	s_or_b64 exec, exec, s[2:3]
	v_lshlrev_b32_e32 v43, 1, v39
	v_mov_b32_e32 v44, 0
	v_lshlrev_b64 v[45:46], 3, v[43:44]
	v_lshlrev_b32_e32 v49, 1, v52
	v_mov_b32_e32 v50, v44
	v_mov_b32_e32 v71, s13
	v_add_co_u32_e64 v45, s[2:3], s12, v45
	v_lshlrev_b64 v[49:50], 3, v[49:50]
	v_addc_co_u32_e64 v46, s[2:3], v71, v46, s[2:3]
	v_add_co_u32_e64 v49, s[2:3], s12, v49
	v_addc_co_u32_e64 v50, s[2:3], v71, v50, s[2:3]
	global_load_dwordx4 v[55:58], v[45:46], off offset:3160
	global_load_dwordx4 v[59:62], v[49:50], off offset:3160
	v_lshlrev_b32_e32 v45, 1, v53
	v_mov_b32_e32 v46, v44
	v_lshlrev_b64 v[45:46], 3, v[45:46]
	v_lshlrev_b32_e32 v49, 1, v54
	v_mov_b32_e32 v50, v44
	v_add_co_u32_e64 v45, s[2:3], s12, v45
	v_lshlrev_b64 v[49:50], 3, v[49:50]
	v_addc_co_u32_e64 v46, s[2:3], v71, v46, s[2:3]
	v_add_co_u32_e64 v49, s[2:3], s12, v49
	v_add_u32_e32 v43, 0x258, v43
	v_addc_co_u32_e64 v50, s[2:3], v71, v50, s[2:3]
	global_load_dwordx4 v[63:66], v[45:46], off offset:3160
	global_load_dwordx4 v[67:70], v[49:50], off offset:3160
	v_lshlrev_b64 v[45:46], 3, v[43:44]
	v_lshl_add_u32 v43, v48, 3, v51
	v_add_co_u32_e64 v45, s[2:3], s12, v45
	v_addc_co_u32_e64 v46, s[2:3], v71, v46, s[2:3]
	global_load_dwordx4 v[71:74], v[45:46], off offset:3160
	s_waitcnt vmcnt(0) lgkmcnt(0)
	s_barrier
	v_mul_f32_e32 v45, v56, v13
	v_mul_f32_e32 v46, v56, v12
	;; [unrolled: 1-line block ×4, first 2 shown]
	v_fmac_f32_e32 v45, v55, v12
	v_fma_f32 v12, v55, v13, -v46
	v_fmac_f32_e32 v48, v57, v10
	v_mul_f32_e32 v46, v60, v15
	v_mul_f32_e32 v10, v60, v14
	v_fma_f32 v11, v57, v11, -v49
	v_mul_f32_e32 v49, v62, v17
	v_mul_f32_e32 v13, v62, v16
	v_fmac_f32_e32 v46, v59, v14
	v_add_f32_e32 v14, v35, v12
	v_fmac_f32_e32 v49, v61, v16
	v_fma_f32 v16, v61, v17, -v13
	v_mul_f32_e32 v50, v64, v21
	v_mul_f32_e32 v51, v64, v20
	v_fmac_f32_e32 v50, v63, v20
	v_fma_f32 v20, v63, v21, -v51
	v_sub_f32_e32 v13, v12, v11
	v_fma_f32 v15, v59, v15, -v10
	v_mul_f32_e32 v52, v66, v19
	v_fmac_f32_e32 v52, v65, v18
	v_mul_f32_e32 v60, v8, v72
	v_mul_f32_e32 v58, v9, v72
	v_fma_f32 v51, v9, v71, -v60
	v_add_f32_e32 v9, v45, v48
	v_fmac_f32_e32 v58, v8, v71
	v_add_f32_e32 v8, v34, v45
	v_fma_f32 v34, -0.5, v9, v34
	v_add_f32_e32 v9, v14, v11
	v_add_f32_e32 v11, v12, v11
	v_mov_b32_e32 v10, v34
	v_fmac_f32_e32 v35, -0.5, v11
	v_fmac_f32_e32 v34, 0x3f5db3d7, v13
	v_fmac_f32_e32 v10, 0xbf5db3d7, v13
	v_sub_f32_e32 v12, v45, v48
	v_mov_b32_e32 v11, v35
	v_add_f32_e32 v13, v46, v49
	v_fmac_f32_e32 v11, 0x3f5db3d7, v12
	v_fmac_f32_e32 v35, 0xbf5db3d7, v12
	v_add_f32_e32 v12, v4, v46
	v_fma_f32 v4, -0.5, v13, v4
	v_sub_f32_e32 v13, v15, v16
	v_mov_b32_e32 v14, v4
	v_fmac_f32_e32 v14, 0xbf5db3d7, v13
	v_fmac_f32_e32 v4, 0x3f5db3d7, v13
	v_add_f32_e32 v13, v5, v15
	v_add_f32_e32 v15, v15, v16
	v_fma_f32 v5, -0.5, v15, v5
	v_mul_f32_e32 v53, v66, v18
	v_add_f32_e32 v13, v13, v16
	v_sub_f32_e32 v16, v46, v49
	v_mov_b32_e32 v15, v5
	v_add_f32_e32 v17, v50, v52
	v_fma_f32 v19, v65, v19, -v53
	v_fmac_f32_e32 v15, 0x3f5db3d7, v16
	v_fmac_f32_e32 v5, 0xbf5db3d7, v16
	v_add_f32_e32 v16, v6, v50
	v_fma_f32 v6, -0.5, v17, v6
	v_sub_f32_e32 v17, v20, v19
	v_mov_b32_e32 v18, v6
	v_fmac_f32_e32 v18, 0xbf5db3d7, v17
	v_fmac_f32_e32 v6, 0x3f5db3d7, v17
	v_add_f32_e32 v17, v7, v20
	v_mul_f32_e32 v54, v68, v23
	v_mul_f32_e32 v56, v25, v70
	v_add_f32_e32 v17, v17, v19
	v_add_f32_e32 v19, v20, v19
	v_fmac_f32_e32 v54, v67, v22
	v_fmac_f32_e32 v56, v24, v69
	v_fmac_f32_e32 v7, -0.5, v19
	v_mul_f32_e32 v55, v68, v22
	v_mul_f32_e32 v57, v24, v70
	v_sub_f32_e32 v20, v50, v52
	v_mov_b32_e32 v19, v7
	v_add_f32_e32 v21, v54, v56
	v_fma_f32 v23, v67, v23, -v55
	v_fma_f32 v24, v25, v69, -v57
	v_fmac_f32_e32 v19, 0x3f5db3d7, v20
	v_fmac_f32_e32 v7, 0xbf5db3d7, v20
	v_add_f32_e32 v20, v0, v54
	v_fma_f32 v0, -0.5, v21, v0
	v_sub_f32_e32 v21, v23, v24
	v_mov_b32_e32 v22, v0
	v_mul_f32_e32 v62, v27, v74
	v_fmac_f32_e32 v22, 0xbf5db3d7, v21
	v_fmac_f32_e32 v0, 0x3f5db3d7, v21
	v_add_f32_e32 v21, v1, v23
	v_add_f32_e32 v23, v23, v24
	v_fmac_f32_e32 v62, v26, v73
	v_fma_f32 v1, -0.5, v23, v1
	v_mul_f32_e32 v64, v26, v74
	v_add_f32_e32 v21, v21, v24
	v_sub_f32_e32 v24, v54, v56
	v_mov_b32_e32 v23, v1
	v_add_f32_e32 v25, v58, v62
	v_fma_f32 v27, v27, v73, -v64
	v_fmac_f32_e32 v23, 0x3f5db3d7, v24
	v_fmac_f32_e32 v1, 0xbf5db3d7, v24
	v_add_f32_e32 v24, v2, v58
	v_fma_f32 v2, -0.5, v25, v2
	v_sub_f32_e32 v25, v51, v27
	v_mov_b32_e32 v26, v2
	v_fmac_f32_e32 v26, 0xbf5db3d7, v25
	v_fmac_f32_e32 v2, 0x3f5db3d7, v25
	v_add_f32_e32 v25, v3, v51
	v_add_f32_e32 v8, v8, v48
	;; [unrolled: 1-line block ×5, first 2 shown]
	v_fmac_f32_e32 v3, -0.5, v27
	ds_write_b64 v40, v[34:35] offset:6400
	ds_write2_b64 v40, v[8:9], v[12:13] offset1:75
	v_add_u32_e32 v8, 0xc00, v43
	v_sub_f32_e32 v45, v58, v62
	v_mov_b32_e32 v27, v3
	ds_write2_b64 v8, v[14:15], v[18:19] offset0:91 offset1:166
	v_add_u32_e32 v8, 0x1800, v43
	v_add_f32_e32 v16, v16, v52
	v_add_f32_e32 v20, v20, v56
	v_add_f32_e32 v24, v24, v62
	v_fmac_f32_e32 v27, 0x3f5db3d7, v45
	ds_write2_b64 v8, v[4:5], v[6:7] offset0:107 offset1:182
	ds_write2_b64 v40, v[16:17], v[20:21] offset0:150 offset1:225
	ds_write2_b64 v36, v[24:25], v[10:11] offset0:44 offset1:144
	v_add_u32_e32 v4, 0x1000, v43
	v_fmac_f32_e32 v3, 0xbf5db3d7, v45
	ds_write2_b64 v4, v[22:23], v[26:27] offset0:113 offset1:188
	v_add_u32_e32 v4, 0x2000, v43
	ds_write2_b64 v4, v[0:1], v[2:3] offset0:1 offset1:76
	s_and_saveexec_b64 s[2:3], vcc
	s_cbranch_execz .LBB0_28
; %bb.27:
	v_not_b32_e32 v0, 24
	v_mov_b32_e32 v1, 0x177
	v_cndmask_b32_e32 v0, v0, v1, vcc
	v_add_lshl_u32 v43, v39, v0, 1
	v_lshlrev_b64 v[0:1], 3, v[43:44]
	v_mov_b32_e32 v2, s13
	v_add_co_u32_e32 v0, vcc, s12, v0
	v_addc_co_u32_e32 v1, vcc, v2, v1, vcc
	global_load_dwordx4 v[0:3], v[0:1], off offset:3160
	s_waitcnt vmcnt(0)
	v_mul_f32_e32 v4, v28, v1
	v_mul_f32_e32 v5, v30, v3
	;; [unrolled: 1-line block ×4, first 2 shown]
	v_fma_f32 v3, v29, v0, -v4
	v_fma_f32 v4, v31, v2, -v5
	v_fmac_f32_e32 v1, v28, v0
	v_fmac_f32_e32 v6, v30, v2
	v_add_f32_e32 v0, v3, v4
	v_add_f32_e32 v5, v1, v6
	v_sub_f32_e32 v7, v1, v6
	v_add_f32_e32 v2, v33, v3
	v_sub_f32_e32 v8, v3, v4
	v_add_f32_e32 v9, v32, v1
	v_fma_f32 v1, -0.5, v0, v33
	v_fma_f32 v0, -0.5, v5, v32
	v_add_f32_e32 v3, v2, v4
	v_add_f32_e32 v2, v9, v6
	v_mov_b32_e32 v5, v1
	v_fmac_f32_e32 v1, 0x3f5db3d7, v7
	v_mov_b32_e32 v4, v0
	v_fmac_f32_e32 v0, 0xbf5db3d7, v8
	ds_write_b64 v40, v[2:3] offset:3000
	v_fmac_f32_e32 v5, 0xbf5db3d7, v7
	v_fmac_f32_e32 v4, 0x3f5db3d7, v8
	ds_write_b64 v40, v[0:1] offset:6200
	ds_write_b64 v40, v[4:5] offset:9400
.LBB0_28:
	s_or_b64 exec, exec, s[2:3]
	s_waitcnt lgkmcnt(0)
	s_barrier
	s_and_saveexec_b64 s[2:3], s[0:1]
	s_cbranch_execz .LBB0_30
; %bb.29:
	v_mul_lo_u32 v0, s5, v41
	v_mul_lo_u32 v1, s4, v42
	v_mad_u64_u32 v[4:5], s[0:1], s4, v41, 0
	v_mov_b32_e32 v7, s11
	v_lshl_add_u32 v6, v39, 3, v47
	v_add3_u32 v5, v5, v1, v0
	v_lshlrev_b64 v[4:5], 3, v[4:5]
	v_mov_b32_e32 v40, 0
	v_add_co_u32_e32 v8, vcc, s10, v4
	v_addc_co_u32_e32 v7, vcc, v7, v5, vcc
	v_lshlrev_b64 v[4:5], 3, v[37:38]
	ds_read2_b64 v[0:3], v6 offset1:75
	v_add_co_u32_e32 v8, vcc, v8, v4
	v_addc_co_u32_e32 v7, vcc, v7, v5, vcc
	v_lshlrev_b64 v[4:5], 3, v[39:40]
	v_add_co_u32_e32 v4, vcc, v8, v4
	v_addc_co_u32_e32 v5, vcc, v7, v5, vcc
	s_waitcnt lgkmcnt(0)
	global_store_dwordx2 v[4:5], v[0:1], off
	v_add_u32_e32 v0, 0x4b, v39
	v_mov_b32_e32 v1, v40
	v_lshlrev_b64 v[0:1], 3, v[0:1]
	v_add_u32_e32 v4, 0x96, v39
	v_add_co_u32_e32 v0, vcc, v8, v0
	v_addc_co_u32_e32 v1, vcc, v7, v1, vcc
	global_store_dwordx2 v[0:1], v[2:3], off
	v_mov_b32_e32 v5, v40
	ds_read2_b64 v[0:3], v6 offset0:150 offset1:225
	v_lshlrev_b64 v[4:5], 3, v[4:5]
	v_add_co_u32_e32 v4, vcc, v8, v4
	v_addc_co_u32_e32 v5, vcc, v7, v5, vcc
	s_waitcnt lgkmcnt(0)
	global_store_dwordx2 v[4:5], v[0:1], off
	v_add_u32_e32 v0, 0xe1, v39
	v_mov_b32_e32 v1, v40
	v_lshlrev_b64 v[0:1], 3, v[0:1]
	v_add_u32_e32 v4, 0x12c, v39
	v_add_co_u32_e32 v0, vcc, v8, v0
	v_addc_co_u32_e32 v1, vcc, v7, v1, vcc
	global_store_dwordx2 v[0:1], v[2:3], off
	v_add_u32_e32 v0, 0x800, v6
	v_mov_b32_e32 v5, v40
	ds_read2_b64 v[0:3], v0 offset0:44 offset1:119
	v_lshlrev_b64 v[4:5], 3, v[4:5]
	v_add_co_u32_e32 v4, vcc, v8, v4
	v_addc_co_u32_e32 v5, vcc, v7, v5, vcc
	s_waitcnt lgkmcnt(0)
	global_store_dwordx2 v[4:5], v[0:1], off
	v_add_u32_e32 v0, 0x177, v39
	v_mov_b32_e32 v1, v40
	v_lshlrev_b64 v[0:1], 3, v[0:1]
	v_add_u32_e32 v4, 0x1c2, v39
	v_add_co_u32_e32 v0, vcc, v8, v0
	v_addc_co_u32_e32 v1, vcc, v7, v1, vcc
	global_store_dwordx2 v[0:1], v[2:3], off
	v_add_u32_e32 v0, 0xc00, v6
	;; [unrolled: 15-line block ×6, first 2 shown]
	v_mov_b32_e32 v5, v40
	ds_read2_b64 v[0:3], v0 offset0:26 offset1:101
	v_lshlrev_b64 v[4:5], 3, v[4:5]
	v_add_u32_e32 v39, 0x465, v39
	v_add_co_u32_e32 v4, vcc, v8, v4
	v_addc_co_u32_e32 v5, vcc, v7, v5, vcc
	s_waitcnt lgkmcnt(0)
	global_store_dwordx2 v[4:5], v[0:1], off
	v_lshlrev_b64 v[0:1], 3, v[39:40]
	v_add_co_u32_e32 v0, vcc, v8, v0
	v_addc_co_u32_e32 v1, vcc, v7, v1, vcc
	global_store_dwordx2 v[0:1], v[2:3], off
.LBB0_30:
	s_endpgm
	.section	.rodata,"a",@progbits
	.p2align	6, 0x0
	.amdhsa_kernel fft_rtc_back_len1200_factors_5_5_16_3_wgs_225_tpt_75_halfLds_sp_op_CI_CI_unitstride_sbrr_C2R_dirReg
		.amdhsa_group_segment_fixed_size 0
		.amdhsa_private_segment_fixed_size 0
		.amdhsa_kernarg_size 104
		.amdhsa_user_sgpr_count 6
		.amdhsa_user_sgpr_private_segment_buffer 1
		.amdhsa_user_sgpr_dispatch_ptr 0
		.amdhsa_user_sgpr_queue_ptr 0
		.amdhsa_user_sgpr_kernarg_segment_ptr 1
		.amdhsa_user_sgpr_dispatch_id 0
		.amdhsa_user_sgpr_flat_scratch_init 0
		.amdhsa_user_sgpr_private_segment_size 0
		.amdhsa_uses_dynamic_stack 0
		.amdhsa_system_sgpr_private_segment_wavefront_offset 0
		.amdhsa_system_sgpr_workgroup_id_x 1
		.amdhsa_system_sgpr_workgroup_id_y 0
		.amdhsa_system_sgpr_workgroup_id_z 0
		.amdhsa_system_sgpr_workgroup_info 0
		.amdhsa_system_vgpr_workitem_id 0
		.amdhsa_next_free_vgpr 86
		.amdhsa_next_free_sgpr 28
		.amdhsa_reserve_vcc 1
		.amdhsa_reserve_flat_scratch 0
		.amdhsa_float_round_mode_32 0
		.amdhsa_float_round_mode_16_64 0
		.amdhsa_float_denorm_mode_32 3
		.amdhsa_float_denorm_mode_16_64 3
		.amdhsa_dx10_clamp 1
		.amdhsa_ieee_mode 1
		.amdhsa_fp16_overflow 0
		.amdhsa_exception_fp_ieee_invalid_op 0
		.amdhsa_exception_fp_denorm_src 0
		.amdhsa_exception_fp_ieee_div_zero 0
		.amdhsa_exception_fp_ieee_overflow 0
		.amdhsa_exception_fp_ieee_underflow 0
		.amdhsa_exception_fp_ieee_inexact 0
		.amdhsa_exception_int_div_zero 0
	.end_amdhsa_kernel
	.text
.Lfunc_end0:
	.size	fft_rtc_back_len1200_factors_5_5_16_3_wgs_225_tpt_75_halfLds_sp_op_CI_CI_unitstride_sbrr_C2R_dirReg, .Lfunc_end0-fft_rtc_back_len1200_factors_5_5_16_3_wgs_225_tpt_75_halfLds_sp_op_CI_CI_unitstride_sbrr_C2R_dirReg
                                        ; -- End function
	.section	.AMDGPU.csdata,"",@progbits
; Kernel info:
; codeLenInByte = 10796
; NumSgprs: 32
; NumVgprs: 86
; ScratchSize: 0
; MemoryBound: 0
; FloatMode: 240
; IeeeMode: 1
; LDSByteSize: 0 bytes/workgroup (compile time only)
; SGPRBlocks: 3
; VGPRBlocks: 21
; NumSGPRsForWavesPerEU: 32
; NumVGPRsForWavesPerEU: 86
; Occupancy: 2
; WaveLimiterHint : 1
; COMPUTE_PGM_RSRC2:SCRATCH_EN: 0
; COMPUTE_PGM_RSRC2:USER_SGPR: 6
; COMPUTE_PGM_RSRC2:TRAP_HANDLER: 0
; COMPUTE_PGM_RSRC2:TGID_X_EN: 1
; COMPUTE_PGM_RSRC2:TGID_Y_EN: 0
; COMPUTE_PGM_RSRC2:TGID_Z_EN: 0
; COMPUTE_PGM_RSRC2:TIDIG_COMP_CNT: 0
	.type	__hip_cuid_373c4d834b9035b6,@object ; @__hip_cuid_373c4d834b9035b6
	.section	.bss,"aw",@nobits
	.globl	__hip_cuid_373c4d834b9035b6
__hip_cuid_373c4d834b9035b6:
	.byte	0                               ; 0x0
	.size	__hip_cuid_373c4d834b9035b6, 1

	.ident	"AMD clang version 19.0.0git (https://github.com/RadeonOpenCompute/llvm-project roc-6.4.0 25133 c7fe45cf4b819c5991fe208aaa96edf142730f1d)"
	.section	".note.GNU-stack","",@progbits
	.addrsig
	.addrsig_sym __hip_cuid_373c4d834b9035b6
	.amdgpu_metadata
---
amdhsa.kernels:
  - .args:
      - .actual_access:  read_only
        .address_space:  global
        .offset:         0
        .size:           8
        .value_kind:     global_buffer
      - .offset:         8
        .size:           8
        .value_kind:     by_value
      - .actual_access:  read_only
        .address_space:  global
        .offset:         16
        .size:           8
        .value_kind:     global_buffer
      - .actual_access:  read_only
        .address_space:  global
        .offset:         24
        .size:           8
        .value_kind:     global_buffer
      - .actual_access:  read_only
        .address_space:  global
        .offset:         32
        .size:           8
        .value_kind:     global_buffer
      - .offset:         40
        .size:           8
        .value_kind:     by_value
      - .actual_access:  read_only
        .address_space:  global
        .offset:         48
        .size:           8
        .value_kind:     global_buffer
      - .actual_access:  read_only
        .address_space:  global
        .offset:         56
        .size:           8
        .value_kind:     global_buffer
      - .offset:         64
        .size:           4
        .value_kind:     by_value
      - .actual_access:  read_only
        .address_space:  global
        .offset:         72
        .size:           8
        .value_kind:     global_buffer
      - .actual_access:  read_only
        .address_space:  global
        .offset:         80
        .size:           8
        .value_kind:     global_buffer
      - .actual_access:  read_only
        .address_space:  global
        .offset:         88
        .size:           8
        .value_kind:     global_buffer
      - .actual_access:  write_only
        .address_space:  global
        .offset:         96
        .size:           8
        .value_kind:     global_buffer
    .group_segment_fixed_size: 0
    .kernarg_segment_align: 8
    .kernarg_segment_size: 104
    .language:       OpenCL C
    .language_version:
      - 2
      - 0
    .max_flat_workgroup_size: 225
    .name:           fft_rtc_back_len1200_factors_5_5_16_3_wgs_225_tpt_75_halfLds_sp_op_CI_CI_unitstride_sbrr_C2R_dirReg
    .private_segment_fixed_size: 0
    .sgpr_count:     32
    .sgpr_spill_count: 0
    .symbol:         fft_rtc_back_len1200_factors_5_5_16_3_wgs_225_tpt_75_halfLds_sp_op_CI_CI_unitstride_sbrr_C2R_dirReg.kd
    .uniform_work_group_size: 1
    .uses_dynamic_stack: false
    .vgpr_count:     86
    .vgpr_spill_count: 0
    .wavefront_size: 64
amdhsa.target:   amdgcn-amd-amdhsa--gfx906
amdhsa.version:
  - 1
  - 2
...

	.end_amdgpu_metadata
